;; amdgpu-corpus repo=ROCm/aiter kind=harvested arch=n/a opt=n/a

/root/src/amdgpu-assembly/repos/ROCm__aiter/hsa/gfx950/fmoe_2stages/fmoe_stage1_bf16_pertokenFp8_g1u1_144x64_pf2.co:	file format elf64-amdgpu

Disassembly of section .text:

0000000000002a00 <_ZN5aiter44fmoe_stage1_bf16_pertokenFp8_g1u1_144x64_pf2E>:
	s_and_b32 s1, s1, 0xffff                                   // 000000002A00: 8601FF01 0000FFFF
	s_load_dwordx2 s[8:9], s[0:1], 0x0                         // 000000002A08: C0060200 00000000
	s_load_dwordx2 s[20:21], s[0:1], 0x10                      // 000000002A10: C0060500 00000010
	s_load_dwordx2 s[24:25], s[0:1], 0x20                      // 000000002A18: C0060600 00000020
	s_load_dwordx2 s[48:49], s[0:1], 0x30                      // 000000002A20: C0060C00 00000030
	s_load_dwordx2 s[28:29], s[0:1], 0x40                      // 000000002A28: C0060700 00000040
	s_load_dwordx2 s[32:33], s[0:1], 0x50                      // 000000002A30: C0060800 00000050
	s_load_dwordx2 s[36:37], s[0:1], 0x60                      // 000000002A38: C0060900 00000060
	s_load_dwordx2 s[12:13], s[0:1], 0x70                      // 000000002A40: C0060300 00000070
	s_load_dwordx2 s[44:45], s[0:1], 0x80                      // 000000002A48: C0060B00 00000080
	s_mov_b32 s89, 0                                           // 000000002A50: BED90080
	s_load_dword s64, s[0:1], 0x90                             // 000000002A54: C0021000 00000090
	s_load_dword s65, s[0:1], 0xa0                             // 000000002A5C: C0021040 000000A0
	s_load_dword s66, s[0:1], 0xb0                             // 000000002A64: C0021080 000000B0
	s_load_dword s67, s[0:1], 0xc0                             // 000000002A6C: C00210C0 000000C0
	s_load_dword s68, s[0:1], 0xd0                             // 000000002A74: C0021100 000000D0
	s_load_dword s69, s[0:1], 0xe0                             // 000000002A7C: C0021140 000000E0
	s_load_dword s71, s[0:1], 0xf0                             // 000000002A84: C00211C0 000000F0
	s_load_dword s72, s[0:1], 0x100                            // 000000002A8C: C0021200 00000100
	s_load_dword s74, s[0:1], 0x110                            // 000000002A94: C0021280 00000110
	s_load_dword s76, s[0:1], 0x120                            // 000000002A9C: C0021300 00000120
	s_load_dword s56, s[0:1], 0x130                            // 000000002AA4: C0020E00 00000130
	s_load_dword s88, s[0:1], 0x140                            // 000000002AAC: C0021600 00000140
	s_load_dword s89, s[0:1], 0x150                            // 000000002AB4: C0021640 00000150
	v_lshrrev_b32_e32 v1, 10, v0                               // 000000002ABC: 2002008A
	v_lshrrev_b32_e32 v2, 10, v1                               // 000000002AC0: 2004028A
	v_and_b32_e32 v2, 0x3ff, v2                                // 000000002AC4: 260404FF 000003FF
	v_and_b32_e32 v1, 0x3ff, v1                                // 000000002ACC: 260202FF 000003FF
	v_and_b32_e32 v0, 0x3ff, v0                                // 000000002AD4: 260000FF 000003FF
	v_lshrrev_b32_e32 v3, 6, v0                                // 000000002ADC: 20060086
	v_and_b32_e32 v0, 63, v0                                   // 000000002AE0: 260000BF
	s_mov_b32 s2, s2                                           // 000000002AE4: BE820002
	s_mov_b32 s3, s3                                           // 000000002AE8: BE830003
	s_mov_b32 s4, s4                                           // 000000002AEC: BE840004
	v_readfirstlane_b32 s7, v3                                 // 000000002AF0: 7E0E0503
	s_waitcnt lgkmcnt(0)                                       // 000000002AF4: BF8CC07F
	s_and_b32 s49, s49, 0xffff                                 // 000000002AF8: 8631FF31 0000FFFF
	s_load_dword s48, s[48:49], 0x0                            // 000000002B00: C0020C18 00000000
	s_and_b32 s45, s45, 0xffff                                 // 000000002B08: 862DFF2D 0000FFFF
	s_and_b32 s9, s9, 0xffff                                   // 000000002B10: 8609FF09 0000FFFF
	s_mul_i32 s60, s66, s68                                    // 000000002B18: 923C4442
	s_mul_i32 s61, s66, 4                                      // 000000002B1C: 923D8442
	s_mov_b32 s22, s60                                         // 000000002B20: BE96003C
	s_mov_b32 s26, -16                                         // 000000002B24: BE9A00D0
	s_mov_b32 s30, s61                                         // 000000002B28: BE9E003D
	s_mov_b32 s14, 0x240                                       // 000000002B2C: BE8E00FF 00000240
	s_mov_b32 s38, -16                                         // 000000002B34: BEA600D0
	s_mov_b32 s10, -16                                         // 000000002B38: BE8A00D0
	s_mov_b32 s34, 0x100                                       // 000000002B3C: BEA200FF 00000100
	s_mov_b32 s23, 0x20000                                     // 000000002B44: BE9700FF 00020000
	s_mov_b32 s27, 0x20000                                     // 000000002B4C: BE9B00FF 00020000
	s_mov_b32 s31, 0x20000                                     // 000000002B54: BE9F00FF 00020000
	s_mov_b32 s35, 0x20000                                     // 000000002B5C: BEA300FF 00020000
	s_mov_b32 s15, 0x20000                                     // 000000002B64: BE8F00FF 00020000
	s_mov_b32 s39, 0x20000                                     // 000000002B6C: BEA700FF 00020000
	s_mov_b32 s11, 0x20000                                     // 000000002B74: BE8B00FF 00020000
	s_and_b32 s21, s21, 0xffff                                 // 000000002B7C: 8615FF15 0000FFFF
	s_and_b32 s25, s25, 0xffff                                 // 000000002B84: 8619FF19 0000FFFF
	s_and_b32 s29, s29, 0xffff                                 // 000000002B8C: 861DFF1D 0000FFFF
	s_and_b32 s33, s33, 0xffff                                 // 000000002B94: 8621FF21 0000FFFF
	s_and_b32 s13, s13, 0xffff                                 // 000000002B9C: 860DFF0D 0000FFFF
	s_and_b32 s37, s37, 0xffff                                 // 000000002BA4: 8625FF25 0000FFFF
	s_or_b32 s21, s21, 0x40000                                 // 000000002BAC: 8715FF15 00040000
	s_or_b32 s25, s25, 0x40000                                 // 000000002BB4: 8719FF19 00040000
	s_or_b32 s29, s29, 0x40000                                 // 000000002BBC: 871DFF1D 00040000
	s_or_b32 s33, s33, 0x40000                                 // 000000002BC4: 8721FF21 00040000
	s_or_b32 s13, s13, 0x40000                                 // 000000002BCC: 870DFF0D 00040000
	s_or_b32 s37, s37, 0x40000                                 // 000000002BD4: 8725FF25 00040000
	v_accvgpr_write_b32 a159, 0                                // 000000002BDC: D3D9409F 18000080
	v_mov_b32_e32 v155, 0                                      // 000000002BE4: 7F360280
	s_waitcnt lgkmcnt(0)                                       // 000000002BE8: BF8CC07F
	s_mul_i32 s60, s3, 0x90                                    // 000000002BEC: 923CFF03 00000090
	s_cmp_lt_i32 s60, s48                                      // 000000002BF4: BF04303C
	s_cbranch_scc0 label_2667                                  // 000000002BF8: BF8425E5
	s_mov_b32 s80, 0                                           // 000000002BFC: BED00080
	s_lshr_b32 s81, s64, s88                                   // 000000002C00: 8F515840
	s_mul_i32 s60, s3, 4                                       // 000000002C04: 923C8403
	s_add_u32 s44, s60, s44                                    // 000000002C08: 802C2C3C
	s_addc_u32 s45, 0, s45                                     // 000000002C0C: 822D2D80
	s_load_dword s5, s[44:45], 0x0                             // 000000002C10: C0020156 00000000
	s_mul_i32 s60, s3, 0x90                                    // 000000002C18: 923CFF03 00000090
	s_mul_i32 s60, 4, s60                                      // 000000002C20: 923C3C84
	s_add_u32 s12, s60, s12                                    // 000000002C24: 800C0C3C
	s_addc_u32 s13, 0, s13                                     // 000000002C28: 820D0D80
	v_and_b32_e32 v4, 15, v0                                   // 000000002C2C: 2608008F
	v_lshlrev_b32_e32 v4, 2, v4                                // 000000002C30: 24080882
	buffer_load_dword v28, v4, s[12:15], 0 offen               // 000000002C34: E0501000 80031C04
	v_add_u32_e32 v4, 64, v4                                   // 000000002C3C: 680808C0
	buffer_load_dword v29, v4, s[12:15], 0 offen               // 000000002C40: E0501000 80031D04
	v_add_u32_e32 v4, 64, v4                                   // 000000002C48: 680808C0
	buffer_load_dword v30, v4, s[12:15], 0 offen               // 000000002C4C: E0501000 80031E04
	v_add_u32_e32 v4, 64, v4                                   // 000000002C54: 680808C0
	buffer_load_dword v31, v4, s[12:15], 0 offen               // 000000002C58: E0501000 80031F04
	v_add_u32_e32 v4, 64, v4                                   // 000000002C60: 680808C0
	buffer_load_dword v32, v4, s[12:15], 0 offen               // 000000002C64: E0501000 80032004
	v_add_u32_e32 v4, 64, v4                                   // 000000002C6C: 680808C0
	buffer_load_dword v33, v4, s[12:15], 0 offen               // 000000002C70: E0501000 80032104
	v_add_u32_e32 v4, 64, v4                                   // 000000002C78: 680808C0
	buffer_load_dword v34, v4, s[12:15], 0 offen               // 000000002C7C: E0501000 80032204
	v_add_u32_e32 v4, 64, v4                                   // 000000002C84: 680808C0
	buffer_load_dword v35, v4, s[12:15], 0 offen               // 000000002C88: E0501000 80032304
	v_add_u32_e32 v4, 64, v4                                   // 000000002C90: 680808C0
	buffer_load_dword v36, v4, s[12:15], 0 offen               // 000000002C94: E0501000 80032404
	v_add_u32_e32 v4, 64, v4                                   // 000000002C9C: 680808C0
	s_mul_i32 s60, 4, s7                                       // 000000002CA0: 923C0784
	v_lshlrev_b32_e32 v4, 4, v0                                // 000000002CA4: 24080084
	v_add_u32_e32 v4, s60, v4                                  // 000000002CA8: 6808083C
	buffer_load_dword v3, v4, s[12:15], 0 offen                // 000000002CAC: E0501000 80030304
	v_mov_b32_e32 v84, 0                                       // 000000002CB4: 7EA80280
	v_mov_b32_e32 v120, 0                                      // 000000002CB8: 7EF00280
	v_mov_b32_e32 v85, 0                                       // 000000002CBC: 7EAA0280
	v_mov_b32_e32 v121, 0                                      // 000000002CC0: 7EF20280
	v_mov_b32_e32 v86, 0                                       // 000000002CC4: 7EAC0280
	v_mov_b32_e32 v122, 0                                      // 000000002CC8: 7EF40280
	v_mov_b32_e32 v87, 0                                       // 000000002CCC: 7EAE0280
	v_mov_b32_e32 v123, 0                                      // 000000002CD0: 7EF60280
	v_mov_b32_e32 v88, 0                                       // 000000002CD4: 7EB00280
	v_mov_b32_e32 v124, 0                                      // 000000002CD8: 7EF80280
	v_mov_b32_e32 v89, 0                                       // 000000002CDC: 7EB20280
	v_mov_b32_e32 v125, 0                                      // 000000002CE0: 7EFA0280
	v_mov_b32_e32 v90, 0                                       // 000000002CE4: 7EB40280
	v_mov_b32_e32 v126, 0                                      // 000000002CE8: 7EFC0280
	v_mov_b32_e32 v91, 0                                       // 000000002CEC: 7EB60280
	v_mov_b32_e32 v127, 0                                      // 000000002CF0: 7EFE0280
	v_mov_b32_e32 v92, 0                                       // 000000002CF4: 7EB80280
	v_mov_b32_e32 v128, 0                                      // 000000002CF8: 7F000280
	v_mov_b32_e32 v93, 0                                       // 000000002CFC: 7EBA0280
	v_mov_b32_e32 v129, 0                                      // 000000002D00: 7F020280
	v_mov_b32_e32 v94, 0                                       // 000000002D04: 7EBC0280
	v_mov_b32_e32 v130, 0                                      // 000000002D08: 7F040280
	v_mov_b32_e32 v95, 0                                       // 000000002D0C: 7EBE0280
	v_mov_b32_e32 v131, 0                                      // 000000002D10: 7F060280
	v_mov_b32_e32 v96, 0                                       // 000000002D14: 7EC00280
	v_mov_b32_e32 v132, 0                                      // 000000002D18: 7F080280
	v_mov_b32_e32 v97, 0                                       // 000000002D1C: 7EC20280
	v_mov_b32_e32 v133, 0                                      // 000000002D20: 7F0A0280
	v_mov_b32_e32 v98, 0                                       // 000000002D24: 7EC40280
	v_mov_b32_e32 v134, 0                                      // 000000002D28: 7F0C0280
	v_mov_b32_e32 v99, 0                                       // 000000002D2C: 7EC60280
	v_mov_b32_e32 v135, 0                                      // 000000002D30: 7F0E0280
	v_mov_b32_e32 v100, 0                                      // 000000002D34: 7EC80280
	v_mov_b32_e32 v136, 0                                      // 000000002D38: 7F100280
	v_mov_b32_e32 v101, 0                                      // 000000002D3C: 7ECA0280
	v_mov_b32_e32 v137, 0                                      // 000000002D40: 7F120280
	v_mov_b32_e32 v102, 0                                      // 000000002D44: 7ECC0280
	v_mov_b32_e32 v138, 0                                      // 000000002D48: 7F140280
	v_mov_b32_e32 v103, 0                                      // 000000002D4C: 7ECE0280
	v_mov_b32_e32 v139, 0                                      // 000000002D50: 7F160280
	v_mov_b32_e32 v104, 0                                      // 000000002D54: 7ED00280
	v_mov_b32_e32 v140, 0                                      // 000000002D58: 7F180280
	v_mov_b32_e32 v105, 0                                      // 000000002D5C: 7ED20280
	v_mov_b32_e32 v141, 0                                      // 000000002D60: 7F1A0280
	v_mov_b32_e32 v106, 0                                      // 000000002D64: 7ED40280
	v_mov_b32_e32 v142, 0                                      // 000000002D68: 7F1C0280
	v_mov_b32_e32 v107, 0                                      // 000000002D6C: 7ED60280
	v_mov_b32_e32 v143, 0                                      // 000000002D70: 7F1E0280
	v_mov_b32_e32 v108, 0                                      // 000000002D74: 7ED80280
	v_mov_b32_e32 v144, 0                                      // 000000002D78: 7F200280
	v_mov_b32_e32 v109, 0                                      // 000000002D7C: 7EDA0280
	v_mov_b32_e32 v145, 0                                      // 000000002D80: 7F220280
	v_mov_b32_e32 v110, 0                                      // 000000002D84: 7EDC0280
	v_mov_b32_e32 v146, 0                                      // 000000002D88: 7F240280
	v_mov_b32_e32 v111, 0                                      // 000000002D8C: 7EDE0280
	v_mov_b32_e32 v147, 0                                      // 000000002D90: 7F260280
	v_mov_b32_e32 v112, 0                                      // 000000002D94: 7EE00280
	v_mov_b32_e32 v148, 0                                      // 000000002D98: 7F280280
	v_mov_b32_e32 v113, 0                                      // 000000002D9C: 7EE20280
	v_mov_b32_e32 v149, 0                                      // 000000002DA0: 7F2A0280
	v_mov_b32_e32 v114, 0                                      // 000000002DA4: 7EE40280
	v_mov_b32_e32 v150, 0                                      // 000000002DA8: 7F2C0280
	v_mov_b32_e32 v115, 0                                      // 000000002DAC: 7EE60280
	v_mov_b32_e32 v151, 0                                      // 000000002DB0: 7F2E0280
	v_mov_b32_e32 v116, 0                                      // 000000002DB4: 7EE80280
	v_mov_b32_e32 v152, 0                                      // 000000002DB8: 7F300280
	v_mov_b32_e32 v117, 0                                      // 000000002DBC: 7EEA0280
	v_mov_b32_e32 v153, 0                                      // 000000002DC0: 7F320280
	v_mov_b32_e32 v118, 0                                      // 000000002DC4: 7EEC0280
	v_mov_b32_e32 v154, 0                                      // 000000002DC8: 7F340280
	v_mov_b32_e32 v119, 0                                      // 000000002DCC: 7EEE0280
	v_mov_b32_e32 v155, 0                                      // 000000002DD0: 7F360280
	s_mul_i32 s60, s2, 0x80                                    // 000000002DD4: 923CFF02 00000080
	s_cmp_eq_u32 s88, 0                                        // 000000002DDC: BF068058
	s_cselect_b32 s61, 1, 2                                    // 000000002DE0: 853D8281
	s_mul_i32 s60, s60, s61                                    // 000000002DE4: 923C3D3C
	s_mov_b32 s90, s8                                          // 000000002DE8: BEDA0008
	s_mov_b32 s91, s9                                          // 000000002DEC: BEDB0009
	s_add_u32 s8, s60, s8                                      // 000000002DF0: 8008083C
	s_addc_u32 s9, 0, s9                                       // 000000002DF4: 82090980
	v_lshrrev_b32_e32 v4, 4, v0                                // 000000002DF8: 20080084
	v_mul_lo_u32 v20, 34, v4                                   // 000000002DFC: D2850014 000208A2
	v_and_b32_e32 v4, 15, v0                                   // 000000002E04: 2608008F
	v_mul_lo_u32 v5, 2, v4                                     // 000000002E08: D2850005 00020882
	v_add_u32_e32 v20, v5, v20                                 // 000000002E10: 68282905
	s_mul_i32 s60, s7, 0x88                                    // 000000002E14: 923CFF07 00000088
	v_add_u32_e32 v20, s60, v20                                // 000000002E1C: 6828283C
	v_lshlrev_b32_e32 v20, 2, v20                              // 000000002E20: 24282882
	v_and_b32_e32 v4, 31, v0                                   // 000000002E24: 2608009F
	v_lshrrev_b32_e32 v4, 1, v4                                // 000000002E28: 20080881
	v_mul_lo_u32 v21, 34, v4                                   // 000000002E2C: D2850015 000208A2
	v_lshrrev_b32_e32 v4, 5, v0                                // 000000002E34: 20080085
	v_mul_lo_u32 v4, 8, v4                                     // 000000002E38: D2850004 00020888
	v_add_u32_e32 v21, v21, v4                                 // 000000002E40: 682A0915
	v_and_b32_e32 v5, 1, v0                                    // 000000002E44: 260A0081
	v_add_u32_e32 v21, v5, v21                                 // 000000002E48: 682A2B05
	s_mul_i32 s60, s7, 2                                       // 000000002E4C: 923C8207
	v_add_u32_e32 v21, s60, v21                                // 000000002E50: 682A2A3C
	v_lshlrev_b32_e32 v21, 2, v21                              // 000000002E54: 242A2A82
	s_mul_i32 s60, s7, 0x1220                                  // 000000002E58: 923CFF07 00001220
	s_add_u32 s48, 0, s60                                      // 000000002E60: 80303C80
	s_add_u32 s49, 0x4880, s48                                 // 000000002E64: 803130FF 00004880
	v_lshrrev_b32_e32 v4, 4, v0                                // 000000002E6C: 20080084
	v_lshlrev_b32_e32 v5, 2, v4                                // 000000002E70: 240A0882
	v_and_b32_e32 v4, 15, v0                                   // 000000002E74: 2608008F
	v_lshrrev_b32_e32 v6, 2, v4                                // 000000002E78: 200C0882
	v_lshlrev_b32_e32 v6, 5, v6                                // 000000002E7C: 240C0C85
	v_add_u32_e32 v5, v6, v5                                   // 000000002E80: 680A0B06
	v_and_b32_e32 v4, 3, v0                                    // 000000002E84: 26080083
	v_mul_u32_u24_e32 v6, 0x488, v4                            // 000000002E88: 100C08FF 00000488
	v_add_u32_e32 v5, v6, v5                                   // 000000002E90: 680A0B06
	v_lshlrev_b32_e32 v2, 2, v5                                // 000000002E94: 24040A82
	s_waitcnt lgkmcnt(0)                                       // 000000002E98: BF8CC07F
	s_mul_i32 s60, s2, 64                                      // 000000002E9C: 923CC002
	s_mul_i32 s60, s60, s69                                    // 000000002EA0: 923C453C
	s_mul_i32 s61, s5, s72                                     // 000000002EA4: 923D4805
	s_add_u32 s60, s61, s60                                    // 000000002EA8: 803C3C3D
	s_add_u32 s24, s60, s24                                    // 000000002EAC: 8018183C
	s_addc_u32 s25, 0, s25                                     // 000000002EB0: 82191980
	s_lshr_b32 s60, s64, s88                                   // 000000002EB4: 8F3C5840
	s_mul_i32 s60, s4, s60                                     // 000000002EB8: 923C3C04
	s_lshr_b32 s60, s60, 7                                     // 000000002EBC: 8F3C873C
	s_mul_i32 s60, s60, 0x800                                  // 000000002EC0: 923CFF3C 00000800
	s_add_u32 s24, s60, s24                                    // 000000002EC8: 8018183C
	s_addc_u32 s25, 0, s25                                     // 000000002ECC: 82191980
	s_lshr_b32 s60, s69, s88                                   // 000000002ED0: 8F3C5845
	s_mul_i32 s60, s4, s60                                     // 000000002ED4: 923C3C04
	s_add_u32 s20, s60, s20                                    // 000000002ED8: 8014143C
	s_addc_u32 s21, 0, s21                                     // 000000002EDC: 82151580
	s_mul_i32 s60, s7, 16                                      // 000000002EE0: 923C9007
	s_mul_i32 s60, s60, s69                                    // 000000002EE4: 923C453C
	v_lshlrev_b32_e32 v82, 4, v0                               // 000000002EE8: 24A40084
	v_add_u32_e32 v82, s60, v82                                // 000000002EEC: 68A4A43C
	s_mul_i32 s60, 64, s69                                     // 000000002EF0: 923C45C0
	s_mov_b32 s84, s24                                         // 000000002EF4: BED40018
	s_mov_b32 s85, s25                                         // 000000002EF8: BED50019
	s_mov_b32 s86, s26                                         // 000000002EFC: BED6001A
	s_mov_b32 s87, s27                                         // 000000002F00: BED7001B
	s_mul_i32 s60, s69, s65                                    // 000000002F04: 923C4145
	s_add_u32 s84, s60, s84                                    // 000000002F08: 8054543C
	s_addc_u32 s85, 0, s85                                     // 000000002F0C: 82555580
	v_lshrrev_b32_e32 v4, 4, v0                                // 000000002F10: 20080084
	v_lshlrev_b32_e32 v5, 2, v4                                // 000000002F14: 240A0882
	v_and_b32_e32 v4, 15, v0                                   // 000000002F18: 2608008F
	v_lshrrev_b32_e32 v6, 2, v4                                // 000000002F1C: 200C0882
	v_lshlrev_b32_e32 v6, 6, v6                                // 000000002F20: 240C0C86
	v_add_u32_e32 v5, v6, v5                                   // 000000002F24: 680A0B06
	v_and_b32_e32 v4, 3, v0                                    // 000000002F28: 26080083
	v_add_u32_e32 v5, v4, v5                                   // 000000002F2C: 680A0B04
	v_lshlrev_b32_e32 v22, 2, v5                               // 000000002F30: 242C0A82
	s_mul_i32 s60, s7, 16                                      // 000000002F34: 923C9007
	s_mul_i32 s60, s60, 4                                      // 000000002F38: 923C843C
	v_add_u32_e32 v22, s60, v22                                // 000000002F3C: 682C2C3C
	s_mul_i32 s60, s2, 64                                      // 000000002F40: 923CC002
	s_mul_i32 s60, s60, 4                                      // 000000002F44: 923C843C
	s_mul_i32 s61, s5, s74                                     // 000000002F48: 923D4A05
	s_add_u32 s61, s61, s60                                    // 000000002F4C: 803D3C3D
	s_add_u32 s32, s61, s32                                    // 000000002F50: 8020203D
	s_addc_u32 s33, 0, s33                                     // 000000002F54: 82212180
	s_mov_b32 s57, 0x80                                        // 000000002F58: BEB900FF 00000080
	s_mov_b32 s58, 0x800                                       // 000000002F60: BEBA00FF 00000800
	s_mov_b32 s83, s58                                         // 000000002F68: BED3003A
	s_mov_b32 s52, 0x7060302                                   // 000000002F6C: BEB400FF 07060302
	s_mov_b32 s53, 0x400                                       // 000000002F74: BEB500FF 00000400
	s_mov_b32 s54, 0x40100                                     // 000000002F7C: BEB600FF 00040100
	s_mov_b32 s55, 0x4020100                                   // 000000002F84: BEB700FF 04020100
	s_mov_b32 s6, 0x3fb8aa3b                                   // 000000002F8C: BE8600FF 3FB8AA3B
	s_mov_b32 s78, 0xbd92220c                                  // 000000002F94: BECE00FF BD92220C
	s_mov_b32 s79, 0xbd92220c                                  // 000000002F9C: BECF00FF BD92220C
	s_mov_b32 m0, s48                                          // 000000002FA4: BEFC0030
	v_mov_b32_e32 v1, 0xbfcc4231                               // 000000002FA8: 7E0202FF BFCC4231
	v_mov_b32_e32 v17, 0xffff0000                              // 000000002FB0: 7E2202FF FFFF0000
	v_mov_b32_e32 v18, 0x7fff0000                              // 000000002FB8: 7E2402FF 7FFF0000
	v_mov_b32_e32 v19, 0x7fff                                  // 000000002FC0: 7E2602FF 00007FFF
	s_waitcnt vmcnt(0) expcnt(0) lgkmcnt(0)                    // 000000002FC8: BF8C0000
	v_lshrrev_b32_e32 v4, 5, v0                                // 000000002FCC: 20080085
	v_xor_b32_e32 v5, 1, v4                                    // 000000002FD0: 2A0A0881
	v_readlane_b32 s82, v3, 0                                  // 000000002FD4: D2890052 00010103
	s_and_b32 s82, s82, 0xffffff                               // 000000002FDC: 8652FF52 00FFFFFF
	v_mul_lo_u32 v6, v5, s82                                   // 000000002FE4: D2850006 0000A505
	v_readlane_b32 s82, v3, 1                                  // 000000002FEC: D2890052 00010303
	s_and_b32 s82, s82, 0xffffff                               // 000000002FF4: 8652FF52 00FFFFFF
	v_mul_lo_u32 v7, v4, s82                                   // 000000002FFC: D2850007 0000A504
	v_add_u32_e32 v64, v6, v7                                  // 000000003004: 68800F06
	v_mul_lo_u32 v64, v64, s68                                 // 000000003008: D2850040 00008940
	v_readlane_b32 s82, v3, 2                                  // 000000003010: D2890052 00010503
	s_and_b32 s82, s82, 0xffffff                               // 000000003018: 8652FF52 00FFFFFF
	v_mul_lo_u32 v6, v5, s82                                   // 000000003020: D2850006 0000A505
	v_readlane_b32 s82, v3, 3                                  // 000000003028: D2890052 00010703
	s_and_b32 s82, s82, 0xffffff                               // 000000003030: 8652FF52 00FFFFFF
	v_mul_lo_u32 v7, v4, s82                                   // 000000003038: D2850007 0000A504
	v_add_u32_e32 v65, v6, v7                                  // 000000003040: 68820F06
	v_mul_lo_u32 v65, v65, s68                                 // 000000003044: D2850041 00008941
	v_readlane_b32 s82, v3, 4                                  // 00000000304C: D2890052 00010903
	s_and_b32 s82, s82, 0xffffff                               // 000000003054: 8652FF52 00FFFFFF
	v_mul_lo_u32 v6, v5, s82                                   // 00000000305C: D2850006 0000A505
	v_readlane_b32 s82, v3, 5                                  // 000000003064: D2890052 00010B03
	s_and_b32 s82, s82, 0xffffff                               // 00000000306C: 8652FF52 00FFFFFF
	v_mul_lo_u32 v7, v4, s82                                   // 000000003074: D2850007 0000A504
	v_add_u32_e32 v66, v6, v7                                  // 00000000307C: 68840F06
	v_mul_lo_u32 v66, v66, s68                                 // 000000003080: D2850042 00008942
	v_readlane_b32 s82, v3, 6                                  // 000000003088: D2890052 00010D03
	s_and_b32 s82, s82, 0xffffff                               // 000000003090: 8652FF52 00FFFFFF
	v_mul_lo_u32 v6, v5, s82                                   // 000000003098: D2850006 0000A505
	v_readlane_b32 s82, v3, 7                                  // 0000000030A0: D2890052 00010F03
	s_and_b32 s82, s82, 0xffffff                               // 0000000030A8: 8652FF52 00FFFFFF
	v_mul_lo_u32 v7, v4, s82                                   // 0000000030B0: D2850007 0000A504
	v_add_u32_e32 v67, v6, v7                                  // 0000000030B8: 68860F06
	v_mul_lo_u32 v67, v67, s68                                 // 0000000030BC: D2850043 00008943
	v_readlane_b32 s82, v3, 8                                  // 0000000030C4: D2890052 00011103
	s_and_b32 s82, s82, 0xffffff                               // 0000000030CC: 8652FF52 00FFFFFF
	v_mul_lo_u32 v6, v5, s82                                   // 0000000030D4: D2850006 0000A505
	v_readlane_b32 s82, v3, 9                                  // 0000000030DC: D2890052 00011303
	s_and_b32 s82, s82, 0xffffff                               // 0000000030E4: 8652FF52 00FFFFFF
	v_mul_lo_u32 v7, v4, s82                                   // 0000000030EC: D2850007 0000A504
	v_add_u32_e32 v68, v6, v7                                  // 0000000030F4: 68880F06
	v_mul_lo_u32 v68, v68, s68                                 // 0000000030F8: D2850044 00008944
	v_readlane_b32 s82, v3, 10                                 // 000000003100: D2890052 00011503
	s_and_b32 s82, s82, 0xffffff                               // 000000003108: 8652FF52 00FFFFFF
	v_mul_lo_u32 v6, v5, s82                                   // 000000003110: D2850006 0000A505
	v_readlane_b32 s82, v3, 11                                 // 000000003118: D2890052 00011703
	s_and_b32 s82, s82, 0xffffff                               // 000000003120: 8652FF52 00FFFFFF
	v_mul_lo_u32 v7, v4, s82                                   // 000000003128: D2850007 0000A504
	v_add_u32_e32 v69, v6, v7                                  // 000000003130: 688A0F06
	v_mul_lo_u32 v69, v69, s68                                 // 000000003134: D2850045 00008945
	v_readlane_b32 s82, v3, 12                                 // 00000000313C: D2890052 00011903
	s_and_b32 s82, s82, 0xffffff                               // 000000003144: 8652FF52 00FFFFFF
	v_mul_lo_u32 v6, v5, s82                                   // 00000000314C: D2850006 0000A505
	v_readlane_b32 s82, v3, 13                                 // 000000003154: D2890052 00011B03
	s_and_b32 s82, s82, 0xffffff                               // 00000000315C: 8652FF52 00FFFFFF
	v_mul_lo_u32 v7, v4, s82                                   // 000000003164: D2850007 0000A504
	v_add_u32_e32 v70, v6, v7                                  // 00000000316C: 688C0F06
	v_mul_lo_u32 v70, v70, s68                                 // 000000003170: D2850046 00008946
	v_readlane_b32 s82, v3, 14                                 // 000000003178: D2890052 00011D03
	s_and_b32 s82, s82, 0xffffff                               // 000000003180: 8652FF52 00FFFFFF
	v_mul_lo_u32 v6, v5, s82                                   // 000000003188: D2850006 0000A505
	v_readlane_b32 s82, v3, 15                                 // 000000003190: D2890052 00011F03
	s_and_b32 s82, s82, 0xffffff                               // 000000003198: 8652FF52 00FFFFFF
	v_mul_lo_u32 v7, v4, s82                                   // 0000000031A0: D2850007 0000A504
	v_add_u32_e32 v71, v6, v7                                  // 0000000031A8: 688E0F06
	v_mul_lo_u32 v71, v71, s68                                 // 0000000031AC: D2850047 00008947
	v_readlane_b32 s82, v3, 16                                 // 0000000031B4: D2890052 00012103
	s_and_b32 s82, s82, 0xffffff                               // 0000000031BC: 8652FF52 00FFFFFF
	v_mul_lo_u32 v6, v5, s82                                   // 0000000031C4: D2850006 0000A505
	v_readlane_b32 s82, v3, 17                                 // 0000000031CC: D2890052 00012303
	s_and_b32 s82, s82, 0xffffff                               // 0000000031D4: 8652FF52 00FFFFFF
	v_mul_lo_u32 v7, v4, s82                                   // 0000000031DC: D2850007 0000A504
	v_add_u32_e32 v72, v6, v7                                  // 0000000031E4: 68900F06
	v_mul_lo_u32 v72, v72, s68                                 // 0000000031E8: D2850048 00008948
	v_readlane_b32 s82, v3, 18                                 // 0000000031F0: D2890052 00012503
	s_and_b32 s82, s82, 0xffffff                               // 0000000031F8: 8652FF52 00FFFFFF
	v_mul_lo_u32 v6, v5, s82                                   // 000000003200: D2850006 0000A505
	v_readlane_b32 s82, v3, 19                                 // 000000003208: D2890052 00012703
	s_and_b32 s82, s82, 0xffffff                               // 000000003210: 8652FF52 00FFFFFF
	v_mul_lo_u32 v7, v4, s82                                   // 000000003218: D2850007 0000A504
	v_add_u32_e32 v73, v6, v7                                  // 000000003220: 68920F06
	v_mul_lo_u32 v73, v73, s68                                 // 000000003224: D2850049 00008949
	v_readlane_b32 s82, v3, 20                                 // 00000000322C: D2890052 00012903
	s_and_b32 s82, s82, 0xffffff                               // 000000003234: 8652FF52 00FFFFFF
	v_mul_lo_u32 v6, v5, s82                                   // 00000000323C: D2850006 0000A505
	v_readlane_b32 s82, v3, 21                                 // 000000003244: D2890052 00012B03
	s_and_b32 s82, s82, 0xffffff                               // 00000000324C: 8652FF52 00FFFFFF
	v_mul_lo_u32 v7, v4, s82                                   // 000000003254: D2850007 0000A504
	v_add_u32_e32 v74, v6, v7                                  // 00000000325C: 68940F06
	v_mul_lo_u32 v74, v74, s68                                 // 000000003260: D285004A 0000894A
	v_readlane_b32 s82, v3, 22                                 // 000000003268: D2890052 00012D03
	s_and_b32 s82, s82, 0xffffff                               // 000000003270: 8652FF52 00FFFFFF
	v_mul_lo_u32 v6, v5, s82                                   // 000000003278: D2850006 0000A505
	v_readlane_b32 s82, v3, 23                                 // 000000003280: D2890052 00012F03
	s_and_b32 s82, s82, 0xffffff                               // 000000003288: 8652FF52 00FFFFFF
	v_mul_lo_u32 v7, v4, s82                                   // 000000003290: D2850007 0000A504
	v_add_u32_e32 v75, v6, v7                                  // 000000003298: 68960F06
	v_mul_lo_u32 v75, v75, s68                                 // 00000000329C: D285004B 0000894B
	v_readlane_b32 s82, v3, 24                                 // 0000000032A4: D2890052 00013103
	s_and_b32 s82, s82, 0xffffff                               // 0000000032AC: 8652FF52 00FFFFFF
	v_mul_lo_u32 v6, v5, s82                                   // 0000000032B4: D2850006 0000A505
	v_readlane_b32 s82, v3, 25                                 // 0000000032BC: D2890052 00013303
	s_and_b32 s82, s82, 0xffffff                               // 0000000032C4: 8652FF52 00FFFFFF
	v_mul_lo_u32 v7, v4, s82                                   // 0000000032CC: D2850007 0000A504
	v_add_u32_e32 v76, v6, v7                                  // 0000000032D4: 68980F06
	v_mul_lo_u32 v76, v76, s68                                 // 0000000032D8: D285004C 0000894C
	v_readlane_b32 s82, v3, 26                                 // 0000000032E0: D2890052 00013503
	s_and_b32 s82, s82, 0xffffff                               // 0000000032E8: 8652FF52 00FFFFFF
	v_mul_lo_u32 v6, v5, s82                                   // 0000000032F0: D2850006 0000A505
	v_readlane_b32 s82, v3, 27                                 // 0000000032F8: D2890052 00013703
	s_and_b32 s82, s82, 0xffffff                               // 000000003300: 8652FF52 00FFFFFF
	v_mul_lo_u32 v7, v4, s82                                   // 000000003308: D2850007 0000A504
	v_add_u32_e32 v77, v6, v7                                  // 000000003310: 689A0F06
	v_mul_lo_u32 v77, v77, s68                                 // 000000003314: D285004D 0000894D
	v_readlane_b32 s82, v3, 28                                 // 00000000331C: D2890052 00013903
	s_and_b32 s82, s82, 0xffffff                               // 000000003324: 8652FF52 00FFFFFF
	v_mul_lo_u32 v6, v5, s82                                   // 00000000332C: D2850006 0000A505
	v_readlane_b32 s82, v3, 29                                 // 000000003334: D2890052 00013B03
	s_and_b32 s82, s82, 0xffffff                               // 00000000333C: 8652FF52 00FFFFFF
	v_mul_lo_u32 v7, v4, s82                                   // 000000003344: D2850007 0000A504
	v_add_u32_e32 v78, v6, v7                                  // 00000000334C: 689C0F06
	v_mul_lo_u32 v78, v78, s68                                 // 000000003350: D285004E 0000894E
	v_readlane_b32 s82, v3, 30                                 // 000000003358: D2890052 00013D03
	s_and_b32 s82, s82, 0xffffff                               // 000000003360: 8652FF52 00FFFFFF
	v_mul_lo_u32 v6, v5, s82                                   // 000000003368: D2850006 0000A505
	v_readlane_b32 s82, v3, 31                                 // 000000003370: D2890052 00013F03
	s_and_b32 s82, s82, 0xffffff                               // 000000003378: 8652FF52 00FFFFFF
	v_mul_lo_u32 v7, v4, s82                                   // 000000003380: D2850007 0000A504
	v_add_u32_e32 v79, v6, v7                                  // 000000003388: 689E0F06
	v_mul_lo_u32 v79, v79, s68                                 // 00000000338C: D285004F 0000894F
	v_readlane_b32 s82, v3, 32                                 // 000000003394: D2890052 00014103
	s_and_b32 s82, s82, 0xffffff                               // 00000000339C: 8652FF52 00FFFFFF
	v_mul_lo_u32 v6, v5, s82                                   // 0000000033A4: D2850006 0000A505
	v_readlane_b32 s82, v3, 33                                 // 0000000033AC: D2890052 00014303
	s_and_b32 s82, s82, 0xffffff                               // 0000000033B4: 8652FF52 00FFFFFF
	v_mul_lo_u32 v7, v4, s82                                   // 0000000033BC: D2850007 0000A504
	v_add_u32_e32 v80, v6, v7                                  // 0000000033C4: 68A00F06
	v_mul_lo_u32 v80, v80, s68                                 // 0000000033C8: D2850050 00008950
	v_readlane_b32 s82, v3, 34                                 // 0000000033D0: D2890052 00014503
	s_and_b32 s82, s82, 0xffffff                               // 0000000033D8: 8652FF52 00FFFFFF
	v_mul_lo_u32 v6, v5, s82                                   // 0000000033E0: D2850006 0000A505
	v_readlane_b32 s82, v3, 35                                 // 0000000033E8: D2890052 00014703
	s_and_b32 s82, s82, 0xffffff                               // 0000000033F0: 8652FF52 00FFFFFF
	v_mul_lo_u32 v7, v4, s82                                   // 0000000033F8: D2850007 0000A504
	v_add_u32_e32 v81, v6, v7                                  // 000000003400: 68A20F06
	v_mul_lo_u32 v81, v81, s68                                 // 000000003404: D2850051 00008951
	v_and_b32_e32 v4, 31, v0                                   // 00000000340C: 2608009F
	v_lshlrev_b32_e32 v4, 2, v4                                // 000000003410: 24080882
	v_add_u32_e32 v64, v64, v4                                 // 000000003414: 68800940
	v_add_u32_e32 v65, v65, v4                                 // 000000003418: 68820941
	v_add_u32_e32 v66, v66, v4                                 // 00000000341C: 68840942
	v_add_u32_e32 v67, v67, v4                                 // 000000003420: 68860943
	v_add_u32_e32 v68, v68, v4                                 // 000000003424: 68880944
	v_add_u32_e32 v69, v69, v4                                 // 000000003428: 688A0945
	v_add_u32_e32 v70, v70, v4                                 // 00000000342C: 688C0946
	v_add_u32_e32 v71, v71, v4                                 // 000000003430: 688E0947
	v_add_u32_e32 v72, v72, v4                                 // 000000003434: 68900948
	v_add_u32_e32 v73, v73, v4                                 // 000000003438: 68920949
	v_add_u32_e32 v74, v74, v4                                 // 00000000343C: 6894094A
	v_add_u32_e32 v75, v75, v4                                 // 000000003440: 6896094B
	v_add_u32_e32 v76, v76, v4                                 // 000000003444: 6898094C
	v_add_u32_e32 v77, v77, v4                                 // 000000003448: 689A094D
	v_add_u32_e32 v78, v78, v4                                 // 00000000344C: 689C094E
	v_add_u32_e32 v79, v79, v4                                 // 000000003450: 689E094F
	v_add_u32_e32 v80, v80, v4                                 // 000000003454: 68A00950
	v_add_u32_e32 v81, v81, v4                                 // 000000003458: 68A20951
	v_and_b32_e32 v28, 0xffffff, v28                           // 00000000345C: 263838FF 00FFFFFF
	v_lshlrev_b32_e32 v28, 2, v28                              // 000000003464: 24383882
	v_and_b32_e32 v29, 0xffffff, v29                           // 000000003468: 263A3AFF 00FFFFFF
	v_lshlrev_b32_e32 v29, 2, v29                              // 000000003470: 243A3A82
	v_and_b32_e32 v30, 0xffffff, v30                           // 000000003474: 263C3CFF 00FFFFFF
	v_lshlrev_b32_e32 v30, 2, v30                              // 00000000347C: 243C3C82
	v_and_b32_e32 v31, 0xffffff, v31                           // 000000003480: 263E3EFF 00FFFFFF
	v_lshlrev_b32_e32 v31, 2, v31                              // 000000003488: 243E3E82
	v_and_b32_e32 v32, 0xffffff, v32                           // 00000000348C: 264040FF 00FFFFFF
	v_lshlrev_b32_e32 v32, 2, v32                              // 000000003494: 24404082
	v_and_b32_e32 v33, 0xffffff, v33                           // 000000003498: 264242FF 00FFFFFF
	v_lshlrev_b32_e32 v33, 2, v33                              // 0000000034A0: 24424282
	v_and_b32_e32 v34, 0xffffff, v34                           // 0000000034A4: 264444FF 00FFFFFF
	v_lshlrev_b32_e32 v34, 2, v34                              // 0000000034AC: 24444482
	v_and_b32_e32 v35, 0xffffff, v35                           // 0000000034B0: 264646FF 00FFFFFF
	v_lshlrev_b32_e32 v35, 2, v35                              // 0000000034B8: 24464682
	v_and_b32_e32 v36, 0xffffff, v36                           // 0000000034BC: 264848FF 00FFFFFF
	v_lshlrev_b32_e32 v36, 2, v36                              // 0000000034C4: 24484882
	s_lshl_b32 s3, s66, 2                                      // 0000000034C8: 8E038242
	buffer_load_dword v37, v28, s[28:31], 0 offen              // 0000000034CC: E0501000 8007251C
	buffer_load_dword v38, v29, s[28:31], 0 offen              // 0000000034D4: E0501000 8007261D
	buffer_load_dword v39, v30, s[28:31], 0 offen              // 0000000034DC: E0501000 8007271E
	buffer_load_dword v40, v31, s[28:31], 0 offen              // 0000000034E4: E0501000 8007281F
	buffer_load_dword v41, v32, s[28:31], 0 offen              // 0000000034EC: E0501000 80072920
	buffer_load_dword v42, v33, s[28:31], 0 offen              // 0000000034F4: E0501000 80072A21
	buffer_load_dword v43, v34, s[28:31], 0 offen              // 0000000034FC: E0501000 80072B22
	buffer_load_dword v44, v35, s[28:31], 0 offen              // 000000003504: E0501000 80072C23
	buffer_load_dword v45, v36, s[28:31], 0 offen              // 00000000350C: E0501000 80072D24
	buffer_load_dword v24, v22, s[32:35], 0 offen              // 000000003514: E0501000 80081816
	s_mul_i32 s60, 4, s65                                      // 00000000351C: 923C4184
	s_add_u32 s32, s60, s32                                    // 000000003520: 8020203C
	s_addc_u32 s33, 0, s33                                     // 000000003524: 82212180
	buffer_load_dword v26, v22, s[32:35], 0 offen              // 000000003528: E0501000 80081A16
	buffer_load_dword v64, s[20:23], 0 offen lds               // 000000003530: E0511000 80050040
	s_add_u32 m0, 0x100, s48                                   // 000000003538: 807C30FF 00000100
	buffer_load_dword v65, s[20:23], 0 offen lds               // 000000003540: E0511000 80050041
	s_add_u32 m0, 0x200, s48                                   // 000000003548: 807C30FF 00000200
	;; [unrolled: 2-line block ×7, first 2 shown]
	buffer_load_dword v71, s[20:23], 0 offen lds               // 0000000035A0: E0511000 80050047
	s_add_u32 m0, 0x800, s48                                   // 0000000035A8: 807C30FF 00000800
	buffer_load_dword v72, s[20:23], 0 offen lds               // 0000000035B0: E0511000 80050048
	s_add_u32 m0, 0x900, s48                                   // 0000000035B8: 807C30FF 00000900
	buffer_load_dword v73, s[20:23], 0 offen lds               // 0000000035C0: E0511000 80050049
	s_add_u32 m0, 0xa00, s48                                   // 0000000035C8: 807C30FF 00000A00
	buffer_load_dword v74, s[20:23], 0 offen lds               // 0000000035D0: E0511000 8005004A
	s_add_u32 m0, 0xb00, s48                                   // 0000000035D8: 807C30FF 00000B00
	buffer_load_dword v75, s[20:23], 0 offen lds               // 0000000035E0: E0511000 8005004B
	s_add_u32 m0, 0xc00, s48                                   // 0000000035E8: 807C30FF 00000C00
	buffer_load_dword v76, s[20:23], 0 offen lds               // 0000000035F0: E0511000 8005004C
	s_add_u32 m0, 0xd00, s48                                   // 0000000035F8: 807C30FF 00000D00
	buffer_load_dword v77, s[20:23], 0 offen lds               // 000000003600: E0511000 8005004D
	s_add_u32 m0, 0xe00, s48                                   // 000000003608: 807C30FF 00000E00
	buffer_load_dword v78, s[20:23], 0 offen lds               // 000000003610: E0511000 8005004E
	s_add_u32 m0, 0xf00, s48                                   // 000000003618: 807C30FF 00000F00
	buffer_load_dword v79, s[20:23], 0 offen lds               // 000000003620: E0511000 8005004F
	s_add_u32 m0, 0x1000, s48                                  // 000000003628: 807C30FF 00001000
	buffer_load_dword v80, s[20:23], 0 offen lds               // 000000003630: E0511000 80050050
	s_add_u32 m0, 0x1100, s48                                  // 000000003638: 807C30FF 00001100
	buffer_load_dword v81, s[20:23], 0 offen lds               // 000000003640: E0511000 80050051
	s_add_u32 m0, 0, s49                                       // 000000003648: 807C3180
	s_add_u32 s20, s57, s20                                    // 00000000364C: 80141439
	s_addc_u32 s21, 0, s21                                     // 000000003650: 82151580
	buffer_load_dword v64, s[20:23], 0 offen lds               // 000000003654: E0511000 80050040
	s_add_u32 m0, 0x100, s49                                   // 00000000365C: 807C31FF 00000100
	buffer_load_dword v65, s[20:23], 0 offen lds               // 000000003664: E0511000 80050041
	s_add_u32 m0, 0x200, s49                                   // 00000000366C: 807C31FF 00000200
	buffer_load_dword v66, s[20:23], 0 offen lds               // 000000003674: E0511000 80050042
	s_add_u32 m0, 0x300, s49                                   // 00000000367C: 807C31FF 00000300
	buffer_load_dword v67, s[20:23], 0 offen lds               // 000000003684: E0511000 80050043
	s_add_u32 m0, 0x400, s49                                   // 00000000368C: 807C31FF 00000400
	buffer_load_dword v68, s[20:23], 0 offen lds               // 000000003694: E0511000 80050044
	s_add_u32 m0, 0x500, s49                                   // 00000000369C: 807C31FF 00000500
	buffer_load_dword v69, s[20:23], 0 offen lds               // 0000000036A4: E0511000 80050045
	s_add_u32 m0, 0x600, s49                                   // 0000000036AC: 807C31FF 00000600
	buffer_load_dword v70, s[20:23], 0 offen lds               // 0000000036B4: E0511000 80050046
	s_add_u32 m0, 0x700, s49                                   // 0000000036BC: 807C31FF 00000700
	buffer_load_dword v71, s[20:23], 0 offen lds               // 0000000036C4: E0511000 80050047
	s_add_u32 m0, 0x800, s49                                   // 0000000036CC: 807C31FF 00000800
	buffer_load_dword v72, s[20:23], 0 offen lds               // 0000000036D4: E0511000 80050048
	s_add_u32 m0, 0x900, s49                                   // 0000000036DC: 807C31FF 00000900
	buffer_load_dword v73, s[20:23], 0 offen lds               // 0000000036E4: E0511000 80050049
	s_add_u32 m0, 0xa00, s49                                   // 0000000036EC: 807C31FF 00000A00
	buffer_load_dword v74, s[20:23], 0 offen lds               // 0000000036F4: E0511000 8005004A
	s_add_u32 m0, 0xb00, s49                                   // 0000000036FC: 807C31FF 00000B00
	buffer_load_dword v75, s[20:23], 0 offen lds               // 000000003704: E0511000 8005004B
	s_add_u32 m0, 0xc00, s49                                   // 00000000370C: 807C31FF 00000C00
	buffer_load_dword v76, s[20:23], 0 offen lds               // 000000003714: E0511000 8005004C
	s_add_u32 m0, 0xd00, s49                                   // 00000000371C: 807C31FF 00000D00
	buffer_load_dword v77, s[20:23], 0 offen lds               // 000000003724: E0511000 8005004D
	s_add_u32 m0, 0xe00, s49                                   // 00000000372C: 807C31FF 00000E00
	buffer_load_dword v78, s[20:23], 0 offen lds               // 000000003734: E0511000 8005004E
	s_add_u32 m0, 0xf00, s49                                   // 00000000373C: 807C31FF 00000F00
	buffer_load_dword v79, s[20:23], 0 offen lds               // 000000003744: E0511000 8005004F
	s_add_u32 m0, 0x1000, s49                                  // 00000000374C: 807C31FF 00001000
	buffer_load_dword v80, s[20:23], 0 offen lds               // 000000003754: E0511000 80050050
	s_add_u32 m0, 0x1100, s49                                  // 00000000375C: 807C31FF 00001100
	buffer_load_dword v81, s[20:23], 0 offen lds               // 000000003764: E0511000 80050051
	s_add_u32 m0, 0, s48                                       // 00000000376C: 807C3080
	s_add_u32 s20, s57, s20                                    // 000000003770: 80141439
	s_addc_u32 s21, 0, s21                                     // 000000003774: 82151580
	buffer_load_dwordx4 a[144:147], v82, s[24:27], 0 offen     // 000000003778: E05C1000 80869052
	buffer_load_dwordx4 a[148:151], v82, s[24:27], 0 offen offset:1024// 000000003780: E05C1400 80869452
	s_add_u32 s24, s58, s24                                    // 000000003788: 8018183A
	s_addc_u32 s25, 0, s25                                     // 00000000378C: 82191980
	s_waitcnt vmcnt(20)                                        // 000000003790: BF8C4F74
	s_barrier                                                  // 000000003794: BF8A0000
	ds_read_b128 a[0:3], v2                                    // 000000003798: DBFE0000 00000002
	ds_read_b128 a[4:7], v2 offset:64                          // 0000000037A0: DBFE0040 04000002
	ds_read_b128 a[8:11], v2 offset:512                        // 0000000037A8: DBFE0200 08000002
	ds_read_b128 a[12:15], v2 offset:576                       // 0000000037B0: DBFE0240 0C000002
	ds_read_b128 a[16:19], v2 offset:1024                      // 0000000037B8: DBFE0400 10000002
	ds_read_b128 a[20:23], v2 offset:1088                      // 0000000037C0: DBFE0440 14000002
	ds_read_b128 a[24:27], v2 offset:1536                      // 0000000037C8: DBFE0600 18000002
	ds_read_b128 a[28:31], v2 offset:1600                      // 0000000037D0: DBFE0640 1C000002
	ds_read_b128 a[32:35], v2 offset:2048                      // 0000000037D8: DBFE0800 20000002
	ds_read_b128 a[36:39], v2 offset:2112                      // 0000000037E0: DBFE0840 24000002
	ds_read_b128 a[40:43], v2 offset:2560                      // 0000000037E8: DBFE0A00 28000002
	ds_read_b128 a[44:47], v2 offset:2624                      // 0000000037F0: DBFE0A40 2C000002
	ds_read_b128 a[48:51], v2 offset:3072                      // 0000000037F8: DBFE0C00 30000002
	ds_read_b128 a[52:55], v2 offset:3136                      // 000000003800: DBFE0C40 34000002
	ds_read_b128 a[56:59], v2 offset:3584                      // 000000003808: DBFE0E00 38000002
	ds_read_b128 a[60:63], v2 offset:3648                      // 000000003810: DBFE0E40 3C000002
	ds_read_b128 a[64:67], v2 offset:4096                      // 000000003818: DBFE1000 40000002
	ds_read_b128 a[68:71], v2 offset:4160                      // 000000003820: DBFE1040 44000002
	s_cmp_lt_i32 s7, 2                                         // 000000003828: BF048207
	s_cbranch_scc0 label_14FB                                  // 00000000382C: BF84116C

0000000000003830 <label_038C>:
	s_waitcnt vmcnt(0) lgkmcnt(0)                              // 000000003830: BF8C0070
	s_barrier                                                  // 000000003834: BF8A0000
	v_mfma_f32_16x16x32_fp8_fp8 v[84:87], a[144:145], a[0:1], v[84:87]// 000000003838: D3F30054 1D520190
	v_mfma_f32_16x16x32_fp8_fp8 v[84:87], a[146:147], a[2:3], v[84:87]// 000000003840: D3F30054 1D520592
	buffer_load_dwordx4 a[152:155], v82, s[84:87], 0 offen     // 000000003848: E05C1000 80959852
	v_mfma_f32_16x16x32_fp8_fp8 v[84:87], a[148:149], a[4:5], v[84:87]// 000000003850: D3F30054 1D520994
	v_mfma_f32_16x16x32_fp8_fp8 v[84:87], a[150:151], a[6:7], v[84:87]// 000000003858: D3F30054 1D520D96
	v_mfma_f32_16x16x32_fp8_fp8 v[88:91], a[144:145], a[8:9], v[88:91]// 000000003860: D3F30058 1D621190
	v_mfma_f32_16x16x32_fp8_fp8 v[88:91], a[146:147], a[10:11], v[88:91]// 000000003868: D3F30058 1D621592
	buffer_load_dwordx4 a[156:159], v82, s[84:87], 0 offen offset:1024// 000000003870: E05C1400 80959C52
	buffer_load_dword v64, s[20:23], 0 offen lds               // 000000003878: E0511000 80050040
	s_add_u32 m0, 0x100, s48                                   // 000000003880: 807C30FF 00000100
	v_mfma_f32_16x16x32_fp8_fp8 v[88:91], a[148:149], a[12:13], v[88:91]// 000000003888: D3F30058 1D621994
	v_mfma_f32_16x16x32_fp8_fp8 v[88:91], a[150:151], a[14:15], v[88:91]// 000000003890: D3F30058 1D621D96
	buffer_load_dword v65, s[20:23], 0 offen lds               // 000000003898: E0511000 80050041
	s_add_u32 m0, 0x200, s48                                   // 0000000038A0: 807C30FF 00000200
	v_mfma_f32_16x16x32_fp8_fp8 v[92:95], a[144:145], a[16:17], v[92:95]// 0000000038A8: D3F3005C 1D722190
	v_mfma_f32_16x16x32_fp8_fp8 v[92:95], a[146:147], a[18:19], v[92:95]// 0000000038B0: D3F3005C 1D722592
	buffer_load_dword v66, s[20:23], 0 offen lds               // 0000000038B8: E0511000 80050042
	s_add_u32 m0, 0x300, s48                                   // 0000000038C0: 807C30FF 00000300
	v_mfma_f32_16x16x32_fp8_fp8 v[92:95], a[148:149], a[20:21], v[92:95]// 0000000038C8: D3F3005C 1D722994
	v_mfma_f32_16x16x32_fp8_fp8 v[92:95], a[150:151], a[22:23], v[92:95]// 0000000038D0: D3F3005C 1D722D96
	buffer_load_dword v67, s[20:23], 0 offen lds               // 0000000038D8: E0511000 80050043
	s_add_u32 m0, 0x400, s48                                   // 0000000038E0: 807C30FF 00000400
	v_mfma_f32_16x16x32_fp8_fp8 v[96:99], a[144:145], a[24:25], v[96:99]// 0000000038E8: D3F30060 1D823190
	v_mfma_f32_16x16x32_fp8_fp8 v[96:99], a[146:147], a[26:27], v[96:99]// 0000000038F0: D3F30060 1D823592
	buffer_load_dword v68, s[20:23], 0 offen lds               // 0000000038F8: E0511000 80050044
	s_add_u32 m0, 0x500, s48                                   // 000000003900: 807C30FF 00000500
	v_mfma_f32_16x16x32_fp8_fp8 v[96:99], a[148:149], a[28:29], v[96:99]// 000000003908: D3F30060 1D823994
	v_mfma_f32_16x16x32_fp8_fp8 v[96:99], a[150:151], a[30:31], v[96:99]// 000000003910: D3F30060 1D823D96
	buffer_load_dword v69, s[20:23], 0 offen lds               // 000000003918: E0511000 80050045
	s_add_u32 m0, 0x600, s48                                   // 000000003920: 807C30FF 00000600
	v_mfma_f32_16x16x32_fp8_fp8 v[100:103], a[144:145], a[32:33], v[100:103]// 000000003928: D3F30064 1D924190
	v_mfma_f32_16x16x32_fp8_fp8 v[100:103], a[146:147], a[34:35], v[100:103]// 000000003930: D3F30064 1D924592
	buffer_load_dword v70, s[20:23], 0 offen lds               // 000000003938: E0511000 80050046
	s_add_u32 m0, 0x700, s48                                   // 000000003940: 807C30FF 00000700
	v_mfma_f32_16x16x32_fp8_fp8 v[100:103], a[148:149], a[36:37], v[100:103]// 000000003948: D3F30064 1D924994
	v_mfma_f32_16x16x32_fp8_fp8 v[100:103], a[150:151], a[38:39], v[100:103]// 000000003950: D3F30064 1D924D96
	buffer_load_dword v71, s[20:23], 0 offen lds               // 000000003958: E0511000 80050047
	s_add_u32 m0, 0x800, s48                                   // 000000003960: 807C30FF 00000800
	v_mfma_f32_16x16x32_fp8_fp8 v[104:107], a[144:145], a[40:41], v[104:107]// 000000003968: D3F30068 1DA25190
	v_mfma_f32_16x16x32_fp8_fp8 v[104:107], a[146:147], a[42:43], v[104:107]// 000000003970: D3F30068 1DA25592
	buffer_load_dword v72, s[20:23], 0 offen lds               // 000000003978: E0511000 80050048
	s_add_u32 m0, 0x900, s48                                   // 000000003980: 807C30FF 00000900
	v_mfma_f32_16x16x32_fp8_fp8 v[104:107], a[148:149], a[44:45], v[104:107]// 000000003988: D3F30068 1DA25994
	v_mfma_f32_16x16x32_fp8_fp8 v[104:107], a[150:151], a[46:47], v[104:107]// 000000003990: D3F30068 1DA25D96
	buffer_load_dword v73, s[20:23], 0 offen lds               // 000000003998: E0511000 80050049
	s_add_u32 m0, 0xa00, s48                                   // 0000000039A0: 807C30FF 00000A00
	v_mfma_f32_16x16x32_fp8_fp8 v[108:111], a[144:145], a[48:49], v[108:111]// 0000000039A8: D3F3006C 1DB26190
	v_mfma_f32_16x16x32_fp8_fp8 v[108:111], a[146:147], a[50:51], v[108:111]// 0000000039B0: D3F3006C 1DB26592
	buffer_load_dword v74, s[20:23], 0 offen lds               // 0000000039B8: E0511000 8005004A
	s_add_u32 m0, 0xb00, s48                                   // 0000000039C0: 807C30FF 00000B00
	v_mfma_f32_16x16x32_fp8_fp8 v[108:111], a[148:149], a[52:53], v[108:111]// 0000000039C8: D3F3006C 1DB26994
	v_mfma_f32_16x16x32_fp8_fp8 v[108:111], a[150:151], a[54:55], v[108:111]// 0000000039D0: D3F3006C 1DB26D96
	buffer_load_dword v75, s[20:23], 0 offen lds               // 0000000039D8: E0511000 8005004B
	s_add_u32 m0, 0xc00, s48                                   // 0000000039E0: 807C30FF 00000C00
	v_mfma_f32_16x16x32_fp8_fp8 v[112:115], a[144:145], a[56:57], v[112:115]// 0000000039E8: D3F30070 1DC27190
	v_mfma_f32_16x16x32_fp8_fp8 v[112:115], a[146:147], a[58:59], v[112:115]// 0000000039F0: D3F30070 1DC27592
	buffer_load_dword v76, s[20:23], 0 offen lds               // 0000000039F8: E0511000 8005004C
	s_add_u32 m0, 0xd00, s48                                   // 000000003A00: 807C30FF 00000D00
	v_mfma_f32_16x16x32_fp8_fp8 v[112:115], a[148:149], a[60:61], v[112:115]// 000000003A08: D3F30070 1DC27994
	v_mfma_f32_16x16x32_fp8_fp8 v[112:115], a[150:151], a[62:63], v[112:115]// 000000003A10: D3F30070 1DC27D96
	buffer_load_dword v77, s[20:23], 0 offen lds               // 000000003A18: E0511000 8005004D
	s_add_u32 m0, 0xe00, s48                                   // 000000003A20: 807C30FF 00000E00
	v_mfma_f32_16x16x32_fp8_fp8 v[116:119], a[144:145], a[64:65], v[116:119]// 000000003A28: D3F30074 1DD28190
	v_mfma_f32_16x16x32_fp8_fp8 v[116:119], a[146:147], a[66:67], v[116:119]// 000000003A30: D3F30074 1DD28592
	buffer_load_dword v78, s[20:23], 0 offen lds               // 000000003A38: E0511000 8005004E
	s_add_u32 m0, 0xf00, s48                                   // 000000003A40: 807C30FF 00000F00
	s_add_u32 s60, 0x80, s80                                   // 000000003A48: 803C50FF 00000080
	s_cmp_lt_u32 s60, s81                                      // 000000003A50: BF0A513C
	s_cselect_b32 s83, s83, 0                                  // 000000003A54: 85538053
	v_mfma_f32_16x16x32_fp8_fp8 v[116:119], a[148:149], a[68:69], v[116:119]// 000000003A58: D3F30074 1DD28994
	v_mfma_f32_16x16x32_fp8_fp8 v[116:119], a[150:151], a[70:71], v[116:119]// 000000003A60: D3F30074 1DD28D96
	buffer_load_dword v79, s[20:23], 0 offen lds               // 000000003A68: E0511000 8005004F
	s_add_u32 m0, 0x1000, s48                                  // 000000003A70: 807C30FF 00001000
	buffer_load_dword v80, s[20:23], 0 offen lds               // 000000003A78: E0511000 80050050
	s_add_u32 m0, 0x1100, s48                                  // 000000003A80: 807C30FF 00001100
	buffer_load_dword v81, s[20:23], 0 offen lds               // 000000003A88: E0511000 80050051
	s_add_u32 m0, 0, s49                                       // 000000003A90: 807C3180
	s_waitcnt vmcnt(18)                                        // 000000003A94: BF8C4F72
	v_mfma_f32_16x16x32_fp8_fp8 v[120:123], a[152:153], a[0:1], v[120:123]// 000000003A98: D3F30078 1DE20198
	v_mfma_f32_16x16x32_fp8_fp8 v[120:123], a[154:155], a[2:3], v[120:123]// 000000003AA0: D3F30078 1DE2059A
	buffer_load_dwordx4 a[144:147], v82, s[24:27], 0 offen     // 000000003AA8: E05C1000 80869052
	v_mfma_f32_16x16x32_fp8_fp8 v[120:123], a[156:157], a[4:5], v[120:123]// 000000003AB0: D3F30078 1DE2099C
	v_mfma_f32_16x16x32_fp8_fp8 v[120:123], a[158:159], a[6:7], v[120:123]// 000000003AB8: D3F30078 1DE20D9E
	ds_read_b128 a[72:75], v2 offset:18560                     // 000000003AC0: DBFE4880 48000002
	ds_read_b128 a[76:79], v2 offset:18624                     // 000000003AC8: DBFE48C0 4C000002
	v_mfma_f32_16x16x32_fp8_fp8 v[124:127], a[152:153], a[8:9], v[124:127]// 000000003AD0: D3F3007C 1DF21198
	v_mfma_f32_16x16x32_fp8_fp8 v[124:127], a[154:155], a[10:11], v[124:127]// 000000003AD8: D3F3007C 1DF2159A
	buffer_load_dwordx4 a[148:151], v82, s[24:27], 0 offen offset:1024// 000000003AE0: E05C1400 80869452
	v_mfma_f32_16x16x32_fp8_fp8 v[124:127], a[156:157], a[12:13], v[124:127]// 000000003AE8: D3F3007C 1DF2199C
	v_mfma_f32_16x16x32_fp8_fp8 v[124:127], a[158:159], a[14:15], v[124:127]// 000000003AF0: D3F3007C 1DF21D9E
	ds_read_b128 a[80:83], v2 offset:19072                     // 000000003AF8: DBFE4A80 50000002
	ds_read_b128 a[84:87], v2 offset:19136                     // 000000003B00: DBFE4AC0 54000002
	v_mfma_f32_16x16x32_fp8_fp8 v[128:131], a[152:153], a[16:17], v[128:131]// 000000003B08: D3F30080 1E022198
	v_mfma_f32_16x16x32_fp8_fp8 v[128:131], a[154:155], a[18:19], v[128:131]// 000000003B10: D3F30080 1E02259A
	v_mfma_f32_16x16x32_fp8_fp8 v[128:131], a[156:157], a[20:21], v[128:131]// 000000003B18: D3F30080 1E02299C
	v_mfma_f32_16x16x32_fp8_fp8 v[128:131], a[158:159], a[22:23], v[128:131]// 000000003B20: D3F30080 1E022D9E
	ds_read_b128 a[88:91], v2 offset:19584                     // 000000003B28: DBFE4C80 58000002
	ds_read_b128 a[92:95], v2 offset:19648                     // 000000003B30: DBFE4CC0 5C000002
	v_mfma_f32_16x16x32_fp8_fp8 v[132:135], a[152:153], a[24:25], v[132:135]// 000000003B38: D3F30084 1E123198
	v_mfma_f32_16x16x32_fp8_fp8 v[132:135], a[154:155], a[26:27], v[132:135]// 000000003B40: D3F30084 1E12359A
	v_mfma_f32_16x16x32_fp8_fp8 v[132:135], a[156:157], a[28:29], v[132:135]// 000000003B48: D3F30084 1E12399C
	v_mfma_f32_16x16x32_fp8_fp8 v[132:135], a[158:159], a[30:31], v[132:135]// 000000003B50: D3F30084 1E123D9E
	ds_read_b128 a[96:99], v2 offset:20096                     // 000000003B58: DBFE4E80 60000002
	ds_read_b128 a[100:103], v2 offset:20160                   // 000000003B60: DBFE4EC0 64000002
	v_mfma_f32_16x16x32_fp8_fp8 v[136:139], a[152:153], a[32:33], v[136:139]// 000000003B68: D3F30088 1E224198
	v_mfma_f32_16x16x32_fp8_fp8 v[136:139], a[154:155], a[34:35], v[136:139]// 000000003B70: D3F30088 1E22459A
	v_mfma_f32_16x16x32_fp8_fp8 v[136:139], a[156:157], a[36:37], v[136:139]// 000000003B78: D3F30088 1E22499C
	v_mfma_f32_16x16x32_fp8_fp8 v[136:139], a[158:159], a[38:39], v[136:139]// 000000003B80: D3F30088 1E224D9E
	ds_read_b128 a[104:107], v2 offset:20608                   // 000000003B88: DBFE5080 68000002
	ds_read_b128 a[108:111], v2 offset:20672                   // 000000003B90: DBFE50C0 6C000002
	v_mfma_f32_16x16x32_fp8_fp8 v[140:143], a[152:153], a[40:41], v[140:143]// 000000003B98: D3F3008C 1E325198
	v_mfma_f32_16x16x32_fp8_fp8 v[140:143], a[154:155], a[42:43], v[140:143]// 000000003BA0: D3F3008C 1E32559A
	v_mfma_f32_16x16x32_fp8_fp8 v[140:143], a[156:157], a[44:45], v[140:143]// 000000003BA8: D3F3008C 1E32599C
	v_mfma_f32_16x16x32_fp8_fp8 v[140:143], a[158:159], a[46:47], v[140:143]// 000000003BB0: D3F3008C 1E325D9E
	ds_read_b128 a[112:115], v2 offset:21120                   // 000000003BB8: DBFE5280 70000002
	ds_read_b128 a[116:119], v2 offset:21184                   // 000000003BC0: DBFE52C0 74000002
	v_mfma_f32_16x16x32_fp8_fp8 v[144:147], a[152:153], a[48:49], v[144:147]// 000000003BC8: D3F30090 1E426198
	v_mfma_f32_16x16x32_fp8_fp8 v[144:147], a[154:155], a[50:51], v[144:147]// 000000003BD0: D3F30090 1E42659A
	v_mfma_f32_16x16x32_fp8_fp8 v[144:147], a[156:157], a[52:53], v[144:147]// 000000003BD8: D3F30090 1E42699C
	v_mfma_f32_16x16x32_fp8_fp8 v[144:147], a[158:159], a[54:55], v[144:147]// 000000003BE0: D3F30090 1E426D9E
	ds_read_b128 a[120:123], v2 offset:21632                   // 000000003BE8: DBFE5480 78000002
	ds_read_b128 a[124:127], v2 offset:21696                   // 000000003BF0: DBFE54C0 7C000002
	v_mfma_f32_16x16x32_fp8_fp8 v[148:151], a[152:153], a[56:57], v[148:151]// 000000003BF8: D3F30094 1E527198
	v_mfma_f32_16x16x32_fp8_fp8 v[148:151], a[154:155], a[58:59], v[148:151]// 000000003C00: D3F30094 1E52759A
	v_mfma_f32_16x16x32_fp8_fp8 v[148:151], a[156:157], a[60:61], v[148:151]// 000000003C08: D3F30094 1E52799C
	s_add_u32 s60, 0x180, s80                                  // 000000003C10: 803C50FF 00000180
	s_cmp_lt_u32 s60, s81                                      // 000000003C18: BF0A513C
	s_cselect_b32 s57, s57, 0                                  // 000000003C1C: 85398039
	v_mfma_f32_16x16x32_fp8_fp8 v[148:151], a[158:159], a[62:63], v[148:151]// 000000003C20: D3F30094 1E527D9E
	ds_read_b128 a[128:131], v2 offset:22144                   // 000000003C28: DBFE5680 80000002
	ds_read_b128 a[132:135], v2 offset:22208                   // 000000003C30: DBFE56C0 84000002
	s_add_u32 s60, 0x100, s80                                  // 000000003C38: 803C50FF 00000100
	s_cmp_lt_u32 s60, s81                                      // 000000003C40: BF0A513C
	s_cselect_b32 s58, s58, 0                                  // 000000003C44: 853A803A
	v_mfma_f32_16x16x32_fp8_fp8 v[152:155], a[152:153], a[64:65], v[152:155]// 000000003C48: D3F30098 1E628198
	s_add_u32 s24, s58, s24                                    // 000000003C50: 8018183A
	s_addc_u32 s25, 0, s25                                     // 000000003C54: 82191980
	v_mfma_f32_16x16x32_fp8_fp8 v[152:155], a[154:155], a[66:67], v[152:155]// 000000003C58: D3F30098 1E62859A
	s_add_u32 s20, s57, s20                                    // 000000003C60: 80141439
	s_addc_u32 s21, 0, s21                                     // 000000003C64: 82151580
	v_mfma_f32_16x16x32_fp8_fp8 v[152:155], a[156:157], a[68:69], v[152:155]// 000000003C68: D3F30098 1E62899C
	s_add_u32 s84, s83, s84                                    // 000000003C70: 80545453
	s_addc_u32 s85, 0, s85                                     // 000000003C74: 82555580
	v_mfma_f32_16x16x32_fp8_fp8 v[152:155], a[158:159], a[70:71], v[152:155]// 000000003C78: D3F30098 1E628D9E
	ds_read_b128 a[136:139], v2 offset:22656                   // 000000003C80: DBFE5880 88000002
	ds_read_b128 a[140:143], v2 offset:22720                   // 000000003C88: DBFE58C0 8C000002
	s_addk_i32 s80, 0x80                                       // 000000003C90: B7500080
	s_cmp_lt_i32 s80, s81                                      // 000000003C94: BF045150
	s_cbranch_scc0 label_05C3                                  // 000000003C98: BF84011C
	s_waitcnt vmcnt(0) lgkmcnt(0)                              // 000000003C9C: BF8C0070
	s_barrier                                                  // 000000003CA0: BF8A0000
	v_mfma_f32_16x16x32_fp8_fp8 v[84:87], a[144:145], a[72:73], v[84:87]// 000000003CA4: D3F30054 1D529190
	v_mfma_f32_16x16x32_fp8_fp8 v[84:87], a[146:147], a[74:75], v[84:87]// 000000003CAC: D3F30054 1D529592
	buffer_load_dwordx4 a[152:155], v82, s[84:87], 0 offen     // 000000003CB4: E05C1000 80959852
	v_mfma_f32_16x16x32_fp8_fp8 v[84:87], a[148:149], a[76:77], v[84:87]// 000000003CBC: D3F30054 1D529994
	v_mfma_f32_16x16x32_fp8_fp8 v[84:87], a[150:151], a[78:79], v[84:87]// 000000003CC4: D3F30054 1D529D96
	v_mfma_f32_16x16x32_fp8_fp8 v[88:91], a[144:145], a[80:81], v[88:91]// 000000003CCC: D3F30058 1D62A190
	v_mfma_f32_16x16x32_fp8_fp8 v[88:91], a[146:147], a[82:83], v[88:91]// 000000003CD4: D3F30058 1D62A592
	buffer_load_dwordx4 a[156:159], v82, s[84:87], 0 offen offset:1024// 000000003CDC: E05C1400 80959C52
	buffer_load_dword v64, s[20:23], 0 offen lds               // 000000003CE4: E0511000 80050040
	s_add_u32 m0, 0x100, s49                                   // 000000003CEC: 807C31FF 00000100
	v_mfma_f32_16x16x32_fp8_fp8 v[88:91], a[148:149], a[84:85], v[88:91]// 000000003CF4: D3F30058 1D62A994
	v_mfma_f32_16x16x32_fp8_fp8 v[88:91], a[150:151], a[86:87], v[88:91]// 000000003CFC: D3F30058 1D62AD96
	buffer_load_dword v65, s[20:23], 0 offen lds               // 000000003D04: E0511000 80050041
	s_add_u32 m0, 0x200, s49                                   // 000000003D0C: 807C31FF 00000200
	v_mfma_f32_16x16x32_fp8_fp8 v[92:95], a[144:145], a[88:89], v[92:95]// 000000003D14: D3F3005C 1D72B190
	v_mfma_f32_16x16x32_fp8_fp8 v[92:95], a[146:147], a[90:91], v[92:95]// 000000003D1C: D3F3005C 1D72B592
	buffer_load_dword v66, s[20:23], 0 offen lds               // 000000003D24: E0511000 80050042
	s_add_u32 m0, 0x300, s49                                   // 000000003D2C: 807C31FF 00000300
	v_mfma_f32_16x16x32_fp8_fp8 v[92:95], a[148:149], a[92:93], v[92:95]// 000000003D34: D3F3005C 1D72B994
	v_mfma_f32_16x16x32_fp8_fp8 v[92:95], a[150:151], a[94:95], v[92:95]// 000000003D3C: D3F3005C 1D72BD96
	buffer_load_dword v67, s[20:23], 0 offen lds               // 000000003D44: E0511000 80050043
	s_add_u32 m0, 0x400, s49                                   // 000000003D4C: 807C31FF 00000400
	v_mfma_f32_16x16x32_fp8_fp8 v[96:99], a[144:145], a[96:97], v[96:99]// 000000003D54: D3F30060 1D82C190
	v_mfma_f32_16x16x32_fp8_fp8 v[96:99], a[146:147], a[98:99], v[96:99]// 000000003D5C: D3F30060 1D82C592
	buffer_load_dword v68, s[20:23], 0 offen lds               // 000000003D64: E0511000 80050044
	s_add_u32 m0, 0x500, s49                                   // 000000003D6C: 807C31FF 00000500
	v_mfma_f32_16x16x32_fp8_fp8 v[96:99], a[148:149], a[100:101], v[96:99]// 000000003D74: D3F30060 1D82C994
	v_mfma_f32_16x16x32_fp8_fp8 v[96:99], a[150:151], a[102:103], v[96:99]// 000000003D7C: D3F30060 1D82CD96
	buffer_load_dword v69, s[20:23], 0 offen lds               // 000000003D84: E0511000 80050045
	s_add_u32 m0, 0x600, s49                                   // 000000003D8C: 807C31FF 00000600
	v_mfma_f32_16x16x32_fp8_fp8 v[100:103], a[144:145], a[104:105], v[100:103]// 000000003D94: D3F30064 1D92D190
	v_mfma_f32_16x16x32_fp8_fp8 v[100:103], a[146:147], a[106:107], v[100:103]// 000000003D9C: D3F30064 1D92D592
	buffer_load_dword v70, s[20:23], 0 offen lds               // 000000003DA4: E0511000 80050046
	s_add_u32 m0, 0x700, s49                                   // 000000003DAC: 807C31FF 00000700
	v_mfma_f32_16x16x32_fp8_fp8 v[100:103], a[148:149], a[108:109], v[100:103]// 000000003DB4: D3F30064 1D92D994
	v_mfma_f32_16x16x32_fp8_fp8 v[100:103], a[150:151], a[110:111], v[100:103]// 000000003DBC: D3F30064 1D92DD96
	buffer_load_dword v71, s[20:23], 0 offen lds               // 000000003DC4: E0511000 80050047
	s_add_u32 m0, 0x800, s49                                   // 000000003DCC: 807C31FF 00000800
	v_mfma_f32_16x16x32_fp8_fp8 v[104:107], a[144:145], a[112:113], v[104:107]// 000000003DD4: D3F30068 1DA2E190
	v_mfma_f32_16x16x32_fp8_fp8 v[104:107], a[146:147], a[114:115], v[104:107]// 000000003DDC: D3F30068 1DA2E592
	buffer_load_dword v72, s[20:23], 0 offen lds               // 000000003DE4: E0511000 80050048
	s_add_u32 m0, 0x900, s49                                   // 000000003DEC: 807C31FF 00000900
	v_mfma_f32_16x16x32_fp8_fp8 v[104:107], a[148:149], a[116:117], v[104:107]// 000000003DF4: D3F30068 1DA2E994
	v_mfma_f32_16x16x32_fp8_fp8 v[104:107], a[150:151], a[118:119], v[104:107]// 000000003DFC: D3F30068 1DA2ED96
	buffer_load_dword v73, s[20:23], 0 offen lds               // 000000003E04: E0511000 80050049
	s_add_u32 m0, 0xa00, s49                                   // 000000003E0C: 807C31FF 00000A00
	v_mfma_f32_16x16x32_fp8_fp8 v[108:111], a[144:145], a[120:121], v[108:111]// 000000003E14: D3F3006C 1DB2F190
	v_mfma_f32_16x16x32_fp8_fp8 v[108:111], a[146:147], a[122:123], v[108:111]// 000000003E1C: D3F3006C 1DB2F592
	buffer_load_dword v74, s[20:23], 0 offen lds               // 000000003E24: E0511000 8005004A
	s_add_u32 m0, 0xb00, s49                                   // 000000003E2C: 807C31FF 00000B00
	v_mfma_f32_16x16x32_fp8_fp8 v[108:111], a[148:149], a[124:125], v[108:111]// 000000003E34: D3F3006C 1DB2F994
	v_mfma_f32_16x16x32_fp8_fp8 v[108:111], a[150:151], a[126:127], v[108:111]// 000000003E3C: D3F3006C 1DB2FD96
	buffer_load_dword v75, s[20:23], 0 offen lds               // 000000003E44: E0511000 8005004B
	s_add_u32 m0, 0xc00, s49                                   // 000000003E4C: 807C31FF 00000C00
	v_mfma_f32_16x16x32_fp8_fp8 v[112:115], a[144:145], a[128:129], v[112:115]// 000000003E54: D3F30070 1DC30190
	v_mfma_f32_16x16x32_fp8_fp8 v[112:115], a[146:147], a[130:131], v[112:115]// 000000003E5C: D3F30070 1DC30592
	buffer_load_dword v76, s[20:23], 0 offen lds               // 000000003E64: E0511000 8005004C
	s_add_u32 m0, 0xd00, s49                                   // 000000003E6C: 807C31FF 00000D00
	v_mfma_f32_16x16x32_fp8_fp8 v[112:115], a[148:149], a[132:133], v[112:115]// 000000003E74: D3F30070 1DC30994
	v_mfma_f32_16x16x32_fp8_fp8 v[112:115], a[150:151], a[134:135], v[112:115]// 000000003E7C: D3F30070 1DC30D96
	buffer_load_dword v77, s[20:23], 0 offen lds               // 000000003E84: E0511000 8005004D
	s_add_u32 m0, 0xe00, s49                                   // 000000003E8C: 807C31FF 00000E00
	v_mfma_f32_16x16x32_fp8_fp8 v[116:119], a[144:145], a[136:137], v[116:119]// 000000003E94: D3F30074 1DD31190
	v_mfma_f32_16x16x32_fp8_fp8 v[116:119], a[146:147], a[138:139], v[116:119]// 000000003E9C: D3F30074 1DD31592
	buffer_load_dword v78, s[20:23], 0 offen lds               // 000000003EA4: E0511000 8005004E
	s_add_u32 m0, 0xf00, s49                                   // 000000003EAC: 807C31FF 00000F00
	s_add_u32 s60, 0x80, s80                                   // 000000003EB4: 803C50FF 00000080
	s_cmp_lt_u32 s60, s81                                      // 000000003EBC: BF0A513C
	s_cselect_b32 s83, s83, 0                                  // 000000003EC0: 85538053
	v_mfma_f32_16x16x32_fp8_fp8 v[116:119], a[148:149], a[140:141], v[116:119]// 000000003EC4: D3F30074 1DD31994
	v_mfma_f32_16x16x32_fp8_fp8 v[116:119], a[150:151], a[142:143], v[116:119]// 000000003ECC: D3F30074 1DD31D96
	buffer_load_dword v79, s[20:23], 0 offen lds               // 000000003ED4: E0511000 8005004F
	s_add_u32 m0, 0x1000, s49                                  // 000000003EDC: 807C31FF 00001000
	buffer_load_dword v80, s[20:23], 0 offen lds               // 000000003EE4: E0511000 80050050
	s_add_u32 m0, 0x1100, s49                                  // 000000003EEC: 807C31FF 00001100
	buffer_load_dword v81, s[20:23], 0 offen lds               // 000000003EF4: E0511000 80050051
	s_add_u32 m0, 0, s48                                       // 000000003EFC: 807C3080
	s_waitcnt vmcnt(18)                                        // 000000003F00: BF8C4F72
	v_mfma_f32_16x16x32_fp8_fp8 v[120:123], a[152:153], a[72:73], v[120:123]// 000000003F04: D3F30078 1DE29198
	v_mfma_f32_16x16x32_fp8_fp8 v[120:123], a[154:155], a[74:75], v[120:123]// 000000003F0C: D3F30078 1DE2959A
	buffer_load_dwordx4 a[144:147], v82, s[24:27], 0 offen     // 000000003F14: E05C1000 80869052
	v_mfma_f32_16x16x32_fp8_fp8 v[120:123], a[156:157], a[76:77], v[120:123]// 000000003F1C: D3F30078 1DE2999C
	v_mfma_f32_16x16x32_fp8_fp8 v[120:123], a[158:159], a[78:79], v[120:123]// 000000003F24: D3F30078 1DE29D9E
	ds_read_b128 a[0:3], v2                                    // 000000003F2C: DBFE0000 00000002
	ds_read_b128 a[4:7], v2 offset:64                          // 000000003F34: DBFE0040 04000002
	v_mfma_f32_16x16x32_fp8_fp8 v[124:127], a[152:153], a[80:81], v[124:127]// 000000003F3C: D3F3007C 1DF2A198
	v_mfma_f32_16x16x32_fp8_fp8 v[124:127], a[154:155], a[82:83], v[124:127]// 000000003F44: D3F3007C 1DF2A59A
	buffer_load_dwordx4 a[148:151], v82, s[24:27], 0 offen offset:1024// 000000003F4C: E05C1400 80869452
	v_mfma_f32_16x16x32_fp8_fp8 v[124:127], a[156:157], a[84:85], v[124:127]// 000000003F54: D3F3007C 1DF2A99C
	v_mfma_f32_16x16x32_fp8_fp8 v[124:127], a[158:159], a[86:87], v[124:127]// 000000003F5C: D3F3007C 1DF2AD9E
	ds_read_b128 a[8:11], v2 offset:512                        // 000000003F64: DBFE0200 08000002
	ds_read_b128 a[12:15], v2 offset:576                       // 000000003F6C: DBFE0240 0C000002
	v_mfma_f32_16x16x32_fp8_fp8 v[128:131], a[152:153], a[88:89], v[128:131]// 000000003F74: D3F30080 1E02B198
	v_mfma_f32_16x16x32_fp8_fp8 v[128:131], a[154:155], a[90:91], v[128:131]// 000000003F7C: D3F30080 1E02B59A
	v_mfma_f32_16x16x32_fp8_fp8 v[128:131], a[156:157], a[92:93], v[128:131]// 000000003F84: D3F30080 1E02B99C
	v_mfma_f32_16x16x32_fp8_fp8 v[128:131], a[158:159], a[94:95], v[128:131]// 000000003F8C: D3F30080 1E02BD9E
	ds_read_b128 a[16:19], v2 offset:1024                      // 000000003F94: DBFE0400 10000002
	ds_read_b128 a[20:23], v2 offset:1088                      // 000000003F9C: DBFE0440 14000002
	v_mfma_f32_16x16x32_fp8_fp8 v[132:135], a[152:153], a[96:97], v[132:135]// 000000003FA4: D3F30084 1E12C198
	v_mfma_f32_16x16x32_fp8_fp8 v[132:135], a[154:155], a[98:99], v[132:135]// 000000003FAC: D3F30084 1E12C59A
	v_mfma_f32_16x16x32_fp8_fp8 v[132:135], a[156:157], a[100:101], v[132:135]// 000000003FB4: D3F30084 1E12C99C
	v_mfma_f32_16x16x32_fp8_fp8 v[132:135], a[158:159], a[102:103], v[132:135]// 000000003FBC: D3F30084 1E12CD9E
	ds_read_b128 a[24:27], v2 offset:1536                      // 000000003FC4: DBFE0600 18000002
	ds_read_b128 a[28:31], v2 offset:1600                      // 000000003FCC: DBFE0640 1C000002
	v_mfma_f32_16x16x32_fp8_fp8 v[136:139], a[152:153], a[104:105], v[136:139]// 000000003FD4: D3F30088 1E22D198
	v_mfma_f32_16x16x32_fp8_fp8 v[136:139], a[154:155], a[106:107], v[136:139]// 000000003FDC: D3F30088 1E22D59A
	v_mfma_f32_16x16x32_fp8_fp8 v[136:139], a[156:157], a[108:109], v[136:139]// 000000003FE4: D3F30088 1E22D99C
	v_mfma_f32_16x16x32_fp8_fp8 v[136:139], a[158:159], a[110:111], v[136:139]// 000000003FEC: D3F30088 1E22DD9E
	ds_read_b128 a[32:35], v2 offset:2048                      // 000000003FF4: DBFE0800 20000002
	ds_read_b128 a[36:39], v2 offset:2112                      // 000000003FFC: DBFE0840 24000002
	v_mfma_f32_16x16x32_fp8_fp8 v[140:143], a[152:153], a[112:113], v[140:143]// 000000004004: D3F3008C 1E32E198
	v_mfma_f32_16x16x32_fp8_fp8 v[140:143], a[154:155], a[114:115], v[140:143]// 00000000400C: D3F3008C 1E32E59A
	v_mfma_f32_16x16x32_fp8_fp8 v[140:143], a[156:157], a[116:117], v[140:143]// 000000004014: D3F3008C 1E32E99C
	v_mfma_f32_16x16x32_fp8_fp8 v[140:143], a[158:159], a[118:119], v[140:143]// 00000000401C: D3F3008C 1E32ED9E
	ds_read_b128 a[40:43], v2 offset:2560                      // 000000004024: DBFE0A00 28000002
	ds_read_b128 a[44:47], v2 offset:2624                      // 00000000402C: DBFE0A40 2C000002
	v_mfma_f32_16x16x32_fp8_fp8 v[144:147], a[152:153], a[120:121], v[144:147]// 000000004034: D3F30090 1E42F198
	v_mfma_f32_16x16x32_fp8_fp8 v[144:147], a[154:155], a[122:123], v[144:147]// 00000000403C: D3F30090 1E42F59A
	v_mfma_f32_16x16x32_fp8_fp8 v[144:147], a[156:157], a[124:125], v[144:147]// 000000004044: D3F30090 1E42F99C
	v_mfma_f32_16x16x32_fp8_fp8 v[144:147], a[158:159], a[126:127], v[144:147]// 00000000404C: D3F30090 1E42FD9E
	ds_read_b128 a[48:51], v2 offset:3072                      // 000000004054: DBFE0C00 30000002
	ds_read_b128 a[52:55], v2 offset:3136                      // 00000000405C: DBFE0C40 34000002
	v_mfma_f32_16x16x32_fp8_fp8 v[148:151], a[152:153], a[128:129], v[148:151]// 000000004064: D3F30094 1E530198
	v_mfma_f32_16x16x32_fp8_fp8 v[148:151], a[154:155], a[130:131], v[148:151]// 00000000406C: D3F30094 1E53059A
	v_mfma_f32_16x16x32_fp8_fp8 v[148:151], a[156:157], a[132:133], v[148:151]// 000000004074: D3F30094 1E53099C
	s_add_u32 s60, 0x180, s80                                  // 00000000407C: 803C50FF 00000180
	s_cmp_lt_u32 s60, s81                                      // 000000004084: BF0A513C
	s_cselect_b32 s57, s57, 0                                  // 000000004088: 85398039
	v_mfma_f32_16x16x32_fp8_fp8 v[148:151], a[158:159], a[134:135], v[148:151]// 00000000408C: D3F30094 1E530D9E
	ds_read_b128 a[56:59], v2 offset:3584                      // 000000004094: DBFE0E00 38000002
	ds_read_b128 a[60:63], v2 offset:3648                      // 00000000409C: DBFE0E40 3C000002
	s_add_u32 s60, 0x100, s80                                  // 0000000040A4: 803C50FF 00000100
	s_cmp_lt_u32 s60, s81                                      // 0000000040AC: BF0A513C
	s_cselect_b32 s58, s58, 0                                  // 0000000040B0: 853A803A
	v_mfma_f32_16x16x32_fp8_fp8 v[152:155], a[152:153], a[136:137], v[152:155]// 0000000040B4: D3F30098 1E631198
	s_add_u32 s24, s58, s24                                    // 0000000040BC: 8018183A
	s_addc_u32 s25, 0, s25                                     // 0000000040C0: 82191980
	v_mfma_f32_16x16x32_fp8_fp8 v[152:155], a[154:155], a[138:139], v[152:155]// 0000000040C4: D3F30098 1E63159A
	s_add_u32 s20, s57, s20                                    // 0000000040CC: 80141439
	s_addc_u32 s21, 0, s21                                     // 0000000040D0: 82151580
	v_mfma_f32_16x16x32_fp8_fp8 v[152:155], a[156:157], a[140:141], v[152:155]// 0000000040D4: D3F30098 1E63199C
	s_add_u32 s84, s83, s84                                    // 0000000040DC: 80545453
	s_addc_u32 s85, 0, s85                                     // 0000000040E0: 82555580
	v_mfma_f32_16x16x32_fp8_fp8 v[152:155], a[158:159], a[142:143], v[152:155]// 0000000040E4: D3F30098 1E631D9E
	ds_read_b128 a[64:67], v2 offset:4096                      // 0000000040EC: DBFE1000 40000002
	ds_read_b128 a[68:71], v2 offset:4160                      // 0000000040F4: DBFE1040 44000002
	s_addk_i32 s80, 0x80                                       // 0000000040FC: B7500080
	s_cmp_lt_i32 s80, s81                                      // 000000004100: BF045150
	s_cbranch_scc0 label_05C3                                  // 000000004104: BF840001
	s_branch label_038C                                        // 000000004108: BF82FDC9

000000000000410c <label_05C3>:
	v_mul_f32_dpp v84, v24, v84 row_newbcast:0 row_mask:0xf bank_mask:0xf// 00000000410C: 0AA8A8FA FF015018
	v_mul_f32_dpp v85, v24, v85 row_newbcast:1 row_mask:0xf bank_mask:0xf// 000000004114: 0AAAAAFA FF015118
	v_mul_f32_dpp v86, v24, v86 row_newbcast:2 row_mask:0xf bank_mask:0xf// 00000000411C: 0AACACFA FF015218
	v_mul_f32_dpp v87, v24, v87 row_newbcast:3 row_mask:0xf bank_mask:0xf// 000000004124: 0AAEAEFA FF015318
	v_mul_f32_dpp v88, v24, v88 row_newbcast:0 row_mask:0xf bank_mask:0xf// 00000000412C: 0AB0B0FA FF015018
	v_mul_f32_dpp v89, v24, v89 row_newbcast:1 row_mask:0xf bank_mask:0xf// 000000004134: 0AB2B2FA FF015118
	v_mul_f32_dpp v90, v24, v90 row_newbcast:2 row_mask:0xf bank_mask:0xf// 00000000413C: 0AB4B4FA FF015218
	v_mul_f32_dpp v91, v24, v91 row_newbcast:3 row_mask:0xf bank_mask:0xf// 000000004144: 0AB6B6FA FF015318
	v_mul_f32_dpp v92, v24, v92 row_newbcast:0 row_mask:0xf bank_mask:0xf// 00000000414C: 0AB8B8FA FF015018
	v_mul_f32_dpp v93, v24, v93 row_newbcast:1 row_mask:0xf bank_mask:0xf// 000000004154: 0ABABAFA FF015118
	v_mul_f32_dpp v94, v24, v94 row_newbcast:2 row_mask:0xf bank_mask:0xf// 00000000415C: 0ABCBCFA FF015218
	v_mul_f32_dpp v95, v24, v95 row_newbcast:3 row_mask:0xf bank_mask:0xf// 000000004164: 0ABEBEFA FF015318
	v_mul_f32_dpp v96, v24, v96 row_newbcast:0 row_mask:0xf bank_mask:0xf// 00000000416C: 0AC0C0FA FF015018
	v_mul_f32_dpp v97, v24, v97 row_newbcast:1 row_mask:0xf bank_mask:0xf// 000000004174: 0AC2C2FA FF015118
	v_mul_f32_dpp v98, v24, v98 row_newbcast:2 row_mask:0xf bank_mask:0xf// 00000000417C: 0AC4C4FA FF015218
	v_mul_f32_dpp v99, v24, v99 row_newbcast:3 row_mask:0xf bank_mask:0xf// 000000004184: 0AC6C6FA FF015318
	v_mul_f32_dpp v100, v24, v100 row_newbcast:0 row_mask:0xf bank_mask:0xf// 00000000418C: 0AC8C8FA FF015018
	v_mul_f32_dpp v101, v24, v101 row_newbcast:1 row_mask:0xf bank_mask:0xf// 000000004194: 0ACACAFA FF015118
	v_mul_f32_dpp v102, v24, v102 row_newbcast:2 row_mask:0xf bank_mask:0xf// 00000000419C: 0ACCCCFA FF015218
	v_mul_f32_dpp v103, v24, v103 row_newbcast:3 row_mask:0xf bank_mask:0xf// 0000000041A4: 0ACECEFA FF015318
	v_mul_f32_dpp v104, v24, v104 row_newbcast:0 row_mask:0xf bank_mask:0xf// 0000000041AC: 0AD0D0FA FF015018
	v_mul_f32_dpp v105, v24, v105 row_newbcast:1 row_mask:0xf bank_mask:0xf// 0000000041B4: 0AD2D2FA FF015118
	v_mul_f32_dpp v106, v24, v106 row_newbcast:2 row_mask:0xf bank_mask:0xf// 0000000041BC: 0AD4D4FA FF015218
	v_mul_f32_dpp v107, v24, v107 row_newbcast:3 row_mask:0xf bank_mask:0xf// 0000000041C4: 0AD6D6FA FF015318
	v_mul_f32_dpp v108, v24, v108 row_newbcast:0 row_mask:0xf bank_mask:0xf// 0000000041CC: 0AD8D8FA FF015018
	v_mul_f32_dpp v109, v24, v109 row_newbcast:1 row_mask:0xf bank_mask:0xf// 0000000041D4: 0ADADAFA FF015118
	v_mul_f32_dpp v110, v24, v110 row_newbcast:2 row_mask:0xf bank_mask:0xf// 0000000041DC: 0ADCDCFA FF015218
	v_mul_f32_dpp v111, v24, v111 row_newbcast:3 row_mask:0xf bank_mask:0xf// 0000000041E4: 0ADEDEFA FF015318
	v_mul_f32_dpp v112, v24, v112 row_newbcast:0 row_mask:0xf bank_mask:0xf// 0000000041EC: 0AE0E0FA FF015018
	v_mul_f32_dpp v113, v24, v113 row_newbcast:1 row_mask:0xf bank_mask:0xf// 0000000041F4: 0AE2E2FA FF015118
	v_mul_f32_dpp v114, v24, v114 row_newbcast:2 row_mask:0xf bank_mask:0xf// 0000000041FC: 0AE4E4FA FF015218
	v_mul_f32_dpp v115, v24, v115 row_newbcast:3 row_mask:0xf bank_mask:0xf// 000000004204: 0AE6E6FA FF015318
	v_mul_f32_dpp v116, v24, v116 row_newbcast:0 row_mask:0xf bank_mask:0xf// 00000000420C: 0AE8E8FA FF015018
	v_mul_f32_dpp v117, v24, v117 row_newbcast:1 row_mask:0xf bank_mask:0xf// 000000004214: 0AEAEAFA FF015118
	v_mul_f32_dpp v118, v24, v118 row_newbcast:2 row_mask:0xf bank_mask:0xf// 00000000421C: 0AECECFA FF015218
	v_mul_f32_dpp v119, v24, v119 row_newbcast:3 row_mask:0xf bank_mask:0xf// 000000004224: 0AEEEEFA FF015318
	v_mul_f32_dpp v120, v26, v120 row_newbcast:0 row_mask:0xf bank_mask:0xf// 00000000422C: 0AF0F0FA FF01501A
	v_mul_f32_dpp v121, v26, v121 row_newbcast:1 row_mask:0xf bank_mask:0xf// 000000004234: 0AF2F2FA FF01511A
	v_mul_f32_dpp v122, v26, v122 row_newbcast:2 row_mask:0xf bank_mask:0xf// 00000000423C: 0AF4F4FA FF01521A
	v_mul_f32_dpp v123, v26, v123 row_newbcast:3 row_mask:0xf bank_mask:0xf// 000000004244: 0AF6F6FA FF01531A
	v_mul_f32_dpp v124, v26, v124 row_newbcast:0 row_mask:0xf bank_mask:0xf// 00000000424C: 0AF8F8FA FF01501A
	v_mul_f32_dpp v125, v26, v125 row_newbcast:1 row_mask:0xf bank_mask:0xf// 000000004254: 0AFAFAFA FF01511A
	v_mul_f32_dpp v126, v26, v126 row_newbcast:2 row_mask:0xf bank_mask:0xf// 00000000425C: 0AFCFCFA FF01521A
	v_mul_f32_dpp v127, v26, v127 row_newbcast:3 row_mask:0xf bank_mask:0xf// 000000004264: 0AFEFEFA FF01531A
	v_mul_f32_dpp v128, v26, v128 row_newbcast:0 row_mask:0xf bank_mask:0xf// 00000000426C: 0B0100FA FF01501A
	v_mul_f32_dpp v129, v26, v129 row_newbcast:1 row_mask:0xf bank_mask:0xf// 000000004274: 0B0302FA FF01511A
	v_mul_f32_dpp v130, v26, v130 row_newbcast:2 row_mask:0xf bank_mask:0xf// 00000000427C: 0B0504FA FF01521A
	v_mul_f32_dpp v131, v26, v131 row_newbcast:3 row_mask:0xf bank_mask:0xf// 000000004284: 0B0706FA FF01531A
	v_mul_f32_dpp v132, v26, v132 row_newbcast:0 row_mask:0xf bank_mask:0xf// 00000000428C: 0B0908FA FF01501A
	v_mul_f32_dpp v133, v26, v133 row_newbcast:1 row_mask:0xf bank_mask:0xf// 000000004294: 0B0B0AFA FF01511A
	v_mul_f32_dpp v134, v26, v134 row_newbcast:2 row_mask:0xf bank_mask:0xf// 00000000429C: 0B0D0CFA FF01521A
	v_mul_f32_dpp v135, v26, v135 row_newbcast:3 row_mask:0xf bank_mask:0xf// 0000000042A4: 0B0F0EFA FF01531A
	v_mul_f32_dpp v136, v26, v136 row_newbcast:0 row_mask:0xf bank_mask:0xf// 0000000042AC: 0B1110FA FF01501A
	v_mul_f32_dpp v137, v26, v137 row_newbcast:1 row_mask:0xf bank_mask:0xf// 0000000042B4: 0B1312FA FF01511A
	v_mul_f32_dpp v138, v26, v138 row_newbcast:2 row_mask:0xf bank_mask:0xf// 0000000042BC: 0B1514FA FF01521A
	v_mul_f32_dpp v139, v26, v139 row_newbcast:3 row_mask:0xf bank_mask:0xf// 0000000042C4: 0B1716FA FF01531A
	v_mul_f32_dpp v140, v26, v140 row_newbcast:0 row_mask:0xf bank_mask:0xf// 0000000042CC: 0B1918FA FF01501A
	v_mul_f32_dpp v141, v26, v141 row_newbcast:1 row_mask:0xf bank_mask:0xf// 0000000042D4: 0B1B1AFA FF01511A
	v_mul_f32_dpp v142, v26, v142 row_newbcast:2 row_mask:0xf bank_mask:0xf// 0000000042DC: 0B1D1CFA FF01521A
	v_mul_f32_dpp v143, v26, v143 row_newbcast:3 row_mask:0xf bank_mask:0xf// 0000000042E4: 0B1F1EFA FF01531A
	v_mul_f32_dpp v144, v26, v144 row_newbcast:0 row_mask:0xf bank_mask:0xf// 0000000042EC: 0B2120FA FF01501A
	v_mul_f32_dpp v145, v26, v145 row_newbcast:1 row_mask:0xf bank_mask:0xf// 0000000042F4: 0B2322FA FF01511A
	v_mul_f32_dpp v146, v26, v146 row_newbcast:2 row_mask:0xf bank_mask:0xf// 0000000042FC: 0B2524FA FF01521A
	v_mul_f32_dpp v147, v26, v147 row_newbcast:3 row_mask:0xf bank_mask:0xf// 000000004304: 0B2726FA FF01531A
	v_mul_f32_dpp v148, v26, v148 row_newbcast:0 row_mask:0xf bank_mask:0xf// 00000000430C: 0B2928FA FF01501A
	v_mul_f32_dpp v149, v26, v149 row_newbcast:1 row_mask:0xf bank_mask:0xf// 000000004314: 0B2B2AFA FF01511A
	v_mul_f32_dpp v150, v26, v150 row_newbcast:2 row_mask:0xf bank_mask:0xf// 00000000431C: 0B2D2CFA FF01521A
	v_mul_f32_dpp v151, v26, v151 row_newbcast:3 row_mask:0xf bank_mask:0xf// 000000004324: 0B2F2EFA FF01531A
	v_mul_f32_dpp v152, v26, v152 row_newbcast:0 row_mask:0xf bank_mask:0xf// 00000000432C: 0B3130FA FF01501A
	v_mul_f32_dpp v153, v26, v153 row_newbcast:1 row_mask:0xf bank_mask:0xf// 000000004334: 0B3332FA FF01511A
	v_mul_f32_dpp v154, v26, v154 row_newbcast:2 row_mask:0xf bank_mask:0xf// 00000000433C: 0B3534FA FF01521A
	v_mul_f32_dpp v155, v26, v155 row_newbcast:3 row_mask:0xf bank_mask:0xf// 000000004344: 0B3736FA FF01531A
	v_mov_b32_e32 v4, v37                                      // 00000000434C: 7E080325
	v_mov_b32_e32 v5, v4                                       // 000000004350: 7E0A0304
	v_pk_mul_f32 v[84:85], v[4:5], v[84:85]                    // 000000004354: D3B14054 1802A904
	v_pk_mul_f32 v[120:121], v[4:5], v[120:121]                // 00000000435C: D3B14078 1802F104
	v_pk_mul_f32 v[86:87], v[4:5], v[86:87]                    // 000000004364: D3B14056 1802AD04
	v_pk_mul_f32 v[122:123], v[4:5], v[122:123]                // 00000000436C: D3B1407A 1802F504
	v_mov_b32_e32 v4, v38                                      // 000000004374: 7E080326
	v_mov_b32_e32 v5, v4                                       // 000000004378: 7E0A0304
	v_pk_mul_f32 v[88:89], v[4:5], v[88:89]                    // 00000000437C: D3B14058 1802B104
	v_pk_mul_f32 v[124:125], v[4:5], v[124:125]                // 000000004384: D3B1407C 1802F904
	v_pk_mul_f32 v[90:91], v[4:5], v[90:91]                    // 00000000438C: D3B1405A 1802B504
	v_pk_mul_f32 v[126:127], v[4:5], v[126:127]                // 000000004394: D3B1407E 1802FD04
	v_mov_b32_e32 v4, v39                                      // 00000000439C: 7E080327
	v_mov_b32_e32 v5, v4                                       // 0000000043A0: 7E0A0304
	v_pk_mul_f32 v[92:93], v[4:5], v[92:93]                    // 0000000043A4: D3B1405C 1802B904
	v_pk_mul_f32 v[128:129], v[4:5], v[128:129]                // 0000000043AC: D3B14080 18030104
	v_pk_mul_f32 v[94:95], v[4:5], v[94:95]                    // 0000000043B4: D3B1405E 1802BD04
	v_pk_mul_f32 v[130:131], v[4:5], v[130:131]                // 0000000043BC: D3B14082 18030504
	v_mov_b32_e32 v4, v40                                      // 0000000043C4: 7E080328
	v_mov_b32_e32 v5, v4                                       // 0000000043C8: 7E0A0304
	v_pk_mul_f32 v[96:97], v[4:5], v[96:97]                    // 0000000043CC: D3B14060 1802C104
	v_pk_mul_f32 v[132:133], v[4:5], v[132:133]                // 0000000043D4: D3B14084 18030904
	v_pk_mul_f32 v[98:99], v[4:5], v[98:99]                    // 0000000043DC: D3B14062 1802C504
	v_pk_mul_f32 v[134:135], v[4:5], v[134:135]                // 0000000043E4: D3B14086 18030D04
	v_mov_b32_e32 v4, v41                                      // 0000000043EC: 7E080329
	v_mov_b32_e32 v5, v4                                       // 0000000043F0: 7E0A0304
	v_pk_mul_f32 v[100:101], v[4:5], v[100:101]                // 0000000043F4: D3B14064 1802C904
	v_pk_mul_f32 v[136:137], v[4:5], v[136:137]                // 0000000043FC: D3B14088 18031104
	v_pk_mul_f32 v[102:103], v[4:5], v[102:103]                // 000000004404: D3B14066 1802CD04
	v_pk_mul_f32 v[138:139], v[4:5], v[138:139]                // 00000000440C: D3B1408A 18031504
	v_mov_b32_e32 v4, v42                                      // 000000004414: 7E08032A
	v_mov_b32_e32 v5, v4                                       // 000000004418: 7E0A0304
	v_pk_mul_f32 v[104:105], v[4:5], v[104:105]                // 00000000441C: D3B14068 1802D104
	v_pk_mul_f32 v[140:141], v[4:5], v[140:141]                // 000000004424: D3B1408C 18031904
	v_pk_mul_f32 v[106:107], v[4:5], v[106:107]                // 00000000442C: D3B1406A 1802D504
	v_pk_mul_f32 v[142:143], v[4:5], v[142:143]                // 000000004434: D3B1408E 18031D04
	v_mov_b32_e32 v4, v43                                      // 00000000443C: 7E08032B
	v_mov_b32_e32 v5, v4                                       // 000000004440: 7E0A0304
	v_pk_mul_f32 v[108:109], v[4:5], v[108:109]                // 000000004444: D3B1406C 1802D904
	v_pk_mul_f32 v[144:145], v[4:5], v[144:145]                // 00000000444C: D3B14090 18032104
	v_pk_mul_f32 v[110:111], v[4:5], v[110:111]                // 000000004454: D3B1406E 1802DD04
	v_pk_mul_f32 v[146:147], v[4:5], v[146:147]                // 00000000445C: D3B14092 18032504
	v_mov_b32_e32 v4, v44                                      // 000000004464: 7E08032C
	v_mov_b32_e32 v5, v4                                       // 000000004468: 7E0A0304
	v_pk_mul_f32 v[112:113], v[4:5], v[112:113]                // 00000000446C: D3B14070 1802E104
	v_pk_mul_f32 v[148:149], v[4:5], v[148:149]                // 000000004474: D3B14094 18032904
	v_pk_mul_f32 v[114:115], v[4:5], v[114:115]                // 00000000447C: D3B14072 1802E504
	v_pk_mul_f32 v[150:151], v[4:5], v[150:151]                // 000000004484: D3B14096 18032D04
	v_mov_b32_e32 v4, v45                                      // 00000000448C: 7E08032D
	v_mov_b32_e32 v5, v4                                       // 000000004490: 7E0A0304
	v_pk_mul_f32 v[116:117], v[4:5], v[116:117]                // 000000004494: D3B14074 1802E904
	v_pk_mul_f32 v[152:153], v[4:5], v[152:153]                // 00000000449C: D3B14098 18033104
	v_pk_mul_f32 v[118:119], v[4:5], v[118:119]                // 0000000044A4: D3B14076 1802ED04
	v_pk_mul_f32 v[154:155], v[4:5], v[154:155]                // 0000000044AC: D3B1409A 18033504
	s_cmp_eq_u32 s88, 0                                        // 0000000044B4: BF068058
	s_cbranch_scc0 label_0D5A                                  // 0000000044B8: BF8406AB
	s_cmp_eq_u32 s89, 0                                        // 0000000044BC: BF068059
	s_cbranch_scc1 label_081E                                  // 0000000044C0: BF85016D
	v_mov_b32_e32 v8, v1                                       // 0000000044C4: 7E100301
	v_mov_b32_e32 v9, v1                                       // 0000000044C8: 7E120301
	s_mov_b32 s60, s6                                          // 0000000044CC: BEBC0006
	s_mov_b32 s61, s6                                          // 0000000044D0: BEBD0006
	v_pk_mul_f32 v[4:5], v[84:85], v[84:85]                    // 0000000044D4: D3B14004 1802A954
	v_pk_mul_f32 v[6:7], v[86:87], v[86:87]                    // 0000000044DC: D3B14006 1802AD56
	v_pk_fma_f32 v[4:5], v[4:5], s[78:79], v[8:9]              // 0000000044E4: D3B04004 1C209D04
	v_pk_fma_f32 v[6:7], v[6:7], s[78:79], v[8:9]              // 0000000044EC: D3B04006 1C209D06
	v_pk_mul_f32 v[4:5], v[4:5], v[84:85]                      // 0000000044F4: D3B14004 1802A904
	v_pk_mul_f32 v[6:7], v[6:7], v[86:87]                      // 0000000044FC: D3B14006 1802AD06
	v_pk_mul_f32 v[4:5], v[4:5], s[60:61]                      // 000000004504: D3B14004 18007904
	v_pk_mul_f32 v[6:7], v[6:7], s[60:61]                      // 00000000450C: D3B14006 18007906
	v_exp_f32_e32 v4, v4                                       // 000000004514: 7E084104
	v_exp_f32_e32 v5, v5                                       // 000000004518: 7E0A4105
	v_exp_f32_e32 v6, v6                                       // 00000000451C: 7E0C4106
	v_exp_f32_e32 v7, v7                                       // 000000004520: 7E0E4107
	v_add_f32_e64 v4, v4, 1.0                                  // 000000004524: D1010004 0001E504
	v_add_f32_e64 v5, v5, 1.0                                  // 00000000452C: D1010005 0001E505
	v_add_f32_e64 v6, v6, 1.0                                  // 000000004534: D1010006 0001E506
	v_add_f32_e64 v7, v7, 1.0                                  // 00000000453C: D1010007 0001E507
	v_rcp_f32_e32 v4, v4                                       // 000000004544: 7E084504
	v_rcp_f32_e32 v5, v5                                       // 000000004548: 7E0A4505
	v_rcp_f32_e32 v6, v6                                       // 00000000454C: 7E0C4506
	v_rcp_f32_e32 v7, v7                                       // 000000004550: 7E0E4507
	v_mul_f32_e32 v84, v84, v4                                 // 000000004554: 0AA80954
	v_mul_f32_e32 v85, v85, v5                                 // 000000004558: 0AAA0B55
	v_mul_f32_e32 v86, v86, v6                                 // 00000000455C: 0AAC0D56
	v_mul_f32_e32 v87, v87, v7                                 // 000000004560: 0AAE0F57
	v_mul_f32_e32 v84, v84, v120                               // 000000004564: 0AA8F154
	v_mul_f32_e32 v85, v85, v121                               // 000000004568: 0AAAF355
	v_mul_f32_e32 v86, v86, v122                               // 00000000456C: 0AACF556
	v_mul_f32_e32 v87, v87, v123                               // 000000004570: 0AAEF757
	v_pk_mul_f32 v[4:5], v[88:89], v[88:89]                    // 000000004574: D3B14004 1802B158
	v_pk_mul_f32 v[6:7], v[90:91], v[90:91]                    // 00000000457C: D3B14006 1802B55A
	v_pk_fma_f32 v[4:5], v[4:5], s[78:79], v[8:9]              // 000000004584: D3B04004 1C209D04
	v_pk_fma_f32 v[6:7], v[6:7], s[78:79], v[8:9]              // 00000000458C: D3B04006 1C209D06
	v_pk_mul_f32 v[4:5], v[4:5], v[88:89]                      // 000000004594: D3B14004 1802B104
	v_pk_mul_f32 v[6:7], v[6:7], v[90:91]                      // 00000000459C: D3B14006 1802B506
	v_pk_mul_f32 v[4:5], v[4:5], s[60:61]                      // 0000000045A4: D3B14004 18007904
	v_pk_mul_f32 v[6:7], v[6:7], s[60:61]                      // 0000000045AC: D3B14006 18007906
	v_exp_f32_e32 v4, v4                                       // 0000000045B4: 7E084104
	v_exp_f32_e32 v5, v5                                       // 0000000045B8: 7E0A4105
	v_exp_f32_e32 v6, v6                                       // 0000000045BC: 7E0C4106
	v_exp_f32_e32 v7, v7                                       // 0000000045C0: 7E0E4107
	v_add_f32_e64 v4, v4, 1.0                                  // 0000000045C4: D1010004 0001E504
	v_add_f32_e64 v5, v5, 1.0                                  // 0000000045CC: D1010005 0001E505
	v_add_f32_e64 v6, v6, 1.0                                  // 0000000045D4: D1010006 0001E506
	v_add_f32_e64 v7, v7, 1.0                                  // 0000000045DC: D1010007 0001E507
	v_rcp_f32_e32 v4, v4                                       // 0000000045E4: 7E084504
	v_rcp_f32_e32 v5, v5                                       // 0000000045E8: 7E0A4505
	v_rcp_f32_e32 v6, v6                                       // 0000000045EC: 7E0C4506
	v_rcp_f32_e32 v7, v7                                       // 0000000045F0: 7E0E4507
	v_mul_f32_e32 v88, v88, v4                                 // 0000000045F4: 0AB00958
	v_mul_f32_e32 v89, v89, v5                                 // 0000000045F8: 0AB20B59
	v_mul_f32_e32 v90, v90, v6                                 // 0000000045FC: 0AB40D5A
	v_mul_f32_e32 v91, v91, v7                                 // 000000004600: 0AB60F5B
	v_mul_f32_e32 v88, v88, v124                               // 000000004604: 0AB0F958
	v_mul_f32_e32 v89, v89, v125                               // 000000004608: 0AB2FB59
	v_mul_f32_e32 v90, v90, v126                               // 00000000460C: 0AB4FD5A
	v_mul_f32_e32 v91, v91, v127                               // 000000004610: 0AB6FF5B
	v_pk_mul_f32 v[4:5], v[92:93], v[92:93]                    // 000000004614: D3B14004 1802B95C
	v_pk_mul_f32 v[6:7], v[94:95], v[94:95]                    // 00000000461C: D3B14006 1802BD5E
	v_pk_fma_f32 v[4:5], v[4:5], s[78:79], v[8:9]              // 000000004624: D3B04004 1C209D04
	v_pk_fma_f32 v[6:7], v[6:7], s[78:79], v[8:9]              // 00000000462C: D3B04006 1C209D06
	v_pk_mul_f32 v[4:5], v[4:5], v[92:93]                      // 000000004634: D3B14004 1802B904
	v_pk_mul_f32 v[6:7], v[6:7], v[94:95]                      // 00000000463C: D3B14006 1802BD06
	v_pk_mul_f32 v[4:5], v[4:5], s[60:61]                      // 000000004644: D3B14004 18007904
	v_pk_mul_f32 v[6:7], v[6:7], s[60:61]                      // 00000000464C: D3B14006 18007906
	v_exp_f32_e32 v4, v4                                       // 000000004654: 7E084104
	v_exp_f32_e32 v5, v5                                       // 000000004658: 7E0A4105
	v_exp_f32_e32 v6, v6                                       // 00000000465C: 7E0C4106
	v_exp_f32_e32 v7, v7                                       // 000000004660: 7E0E4107
	v_add_f32_e64 v4, v4, 1.0                                  // 000000004664: D1010004 0001E504
	v_add_f32_e64 v5, v5, 1.0                                  // 00000000466C: D1010005 0001E505
	v_add_f32_e64 v6, v6, 1.0                                  // 000000004674: D1010006 0001E506
	v_add_f32_e64 v7, v7, 1.0                                  // 00000000467C: D1010007 0001E507
	v_rcp_f32_e32 v4, v4                                       // 000000004684: 7E084504
	v_rcp_f32_e32 v5, v5                                       // 000000004688: 7E0A4505
	v_rcp_f32_e32 v6, v6                                       // 00000000468C: 7E0C4506
	v_rcp_f32_e32 v7, v7                                       // 000000004690: 7E0E4507
	v_mul_f32_e32 v92, v92, v4                                 // 000000004694: 0AB8095C
	v_mul_f32_e32 v93, v93, v5                                 // 000000004698: 0ABA0B5D
	v_mul_f32_e32 v94, v94, v6                                 // 00000000469C: 0ABC0D5E
	v_mul_f32_e32 v95, v95, v7                                 // 0000000046A0: 0ABE0F5F
	v_mul_f32_e32 v92, v92, v128                               // 0000000046A4: 0AB9015C
	v_mul_f32_e32 v93, v93, v129                               // 0000000046A8: 0ABB035D
	v_mul_f32_e32 v94, v94, v130                               // 0000000046AC: 0ABD055E
	v_mul_f32_e32 v95, v95, v131                               // 0000000046B0: 0ABF075F
	v_pk_mul_f32 v[4:5], v[96:97], v[96:97]                    // 0000000046B4: D3B14004 1802C160
	v_pk_mul_f32 v[6:7], v[98:99], v[98:99]                    // 0000000046BC: D3B14006 1802C562
	v_pk_fma_f32 v[4:5], v[4:5], s[78:79], v[8:9]              // 0000000046C4: D3B04004 1C209D04
	v_pk_fma_f32 v[6:7], v[6:7], s[78:79], v[8:9]              // 0000000046CC: D3B04006 1C209D06
	v_pk_mul_f32 v[4:5], v[4:5], v[96:97]                      // 0000000046D4: D3B14004 1802C104
	v_pk_mul_f32 v[6:7], v[6:7], v[98:99]                      // 0000000046DC: D3B14006 1802C506
	v_pk_mul_f32 v[4:5], v[4:5], s[60:61]                      // 0000000046E4: D3B14004 18007904
	v_pk_mul_f32 v[6:7], v[6:7], s[60:61]                      // 0000000046EC: D3B14006 18007906
	v_exp_f32_e32 v4, v4                                       // 0000000046F4: 7E084104
	v_exp_f32_e32 v5, v5                                       // 0000000046F8: 7E0A4105
	v_exp_f32_e32 v6, v6                                       // 0000000046FC: 7E0C4106
	v_exp_f32_e32 v7, v7                                       // 000000004700: 7E0E4107
	v_add_f32_e64 v4, v4, 1.0                                  // 000000004704: D1010004 0001E504
	v_add_f32_e64 v5, v5, 1.0                                  // 00000000470C: D1010005 0001E505
	v_add_f32_e64 v6, v6, 1.0                                  // 000000004714: D1010006 0001E506
	v_add_f32_e64 v7, v7, 1.0                                  // 00000000471C: D1010007 0001E507
	v_rcp_f32_e32 v4, v4                                       // 000000004724: 7E084504
	v_rcp_f32_e32 v5, v5                                       // 000000004728: 7E0A4505
	v_rcp_f32_e32 v6, v6                                       // 00000000472C: 7E0C4506
	v_rcp_f32_e32 v7, v7                                       // 000000004730: 7E0E4507
	v_mul_f32_e32 v96, v96, v4                                 // 000000004734: 0AC00960
	v_mul_f32_e32 v97, v97, v5                                 // 000000004738: 0AC20B61
	v_mul_f32_e32 v98, v98, v6                                 // 00000000473C: 0AC40D62
	v_mul_f32_e32 v99, v99, v7                                 // 000000004740: 0AC60F63
	v_mul_f32_e32 v96, v96, v132                               // 000000004744: 0AC10960
	v_mul_f32_e32 v97, v97, v133                               // 000000004748: 0AC30B61
	v_mul_f32_e32 v98, v98, v134                               // 00000000474C: 0AC50D62
	v_mul_f32_e32 v99, v99, v135                               // 000000004750: 0AC70F63
	v_pk_mul_f32 v[4:5], v[100:101], v[100:101]                // 000000004754: D3B14004 1802C964
	v_pk_mul_f32 v[6:7], v[102:103], v[102:103]                // 00000000475C: D3B14006 1802CD66
	v_pk_fma_f32 v[4:5], v[4:5], s[78:79], v[8:9]              // 000000004764: D3B04004 1C209D04
	v_pk_fma_f32 v[6:7], v[6:7], s[78:79], v[8:9]              // 00000000476C: D3B04006 1C209D06
	v_pk_mul_f32 v[4:5], v[4:5], v[100:101]                    // 000000004774: D3B14004 1802C904
	v_pk_mul_f32 v[6:7], v[6:7], v[102:103]                    // 00000000477C: D3B14006 1802CD06
	v_pk_mul_f32 v[4:5], v[4:5], s[60:61]                      // 000000004784: D3B14004 18007904
	v_pk_mul_f32 v[6:7], v[6:7], s[60:61]                      // 00000000478C: D3B14006 18007906
	v_exp_f32_e32 v4, v4                                       // 000000004794: 7E084104
	v_exp_f32_e32 v5, v5                                       // 000000004798: 7E0A4105
	v_exp_f32_e32 v6, v6                                       // 00000000479C: 7E0C4106
	v_exp_f32_e32 v7, v7                                       // 0000000047A0: 7E0E4107
	v_add_f32_e64 v4, v4, 1.0                                  // 0000000047A4: D1010004 0001E504
	v_add_f32_e64 v5, v5, 1.0                                  // 0000000047AC: D1010005 0001E505
	v_add_f32_e64 v6, v6, 1.0                                  // 0000000047B4: D1010006 0001E506
	v_add_f32_e64 v7, v7, 1.0                                  // 0000000047BC: D1010007 0001E507
	v_rcp_f32_e32 v4, v4                                       // 0000000047C4: 7E084504
	v_rcp_f32_e32 v5, v5                                       // 0000000047C8: 7E0A4505
	v_rcp_f32_e32 v6, v6                                       // 0000000047CC: 7E0C4506
	v_rcp_f32_e32 v7, v7                                       // 0000000047D0: 7E0E4507
	v_mul_f32_e32 v100, v100, v4                               // 0000000047D4: 0AC80964
	v_mul_f32_e32 v101, v101, v5                               // 0000000047D8: 0ACA0B65
	v_mul_f32_e32 v102, v102, v6                               // 0000000047DC: 0ACC0D66
	v_mul_f32_e32 v103, v103, v7                               // 0000000047E0: 0ACE0F67
	v_mul_f32_e32 v100, v100, v136                             // 0000000047E4: 0AC91164
	v_mul_f32_e32 v101, v101, v137                             // 0000000047E8: 0ACB1365
	v_mul_f32_e32 v102, v102, v138                             // 0000000047EC: 0ACD1566
	v_mul_f32_e32 v103, v103, v139                             // 0000000047F0: 0ACF1767
	v_pk_mul_f32 v[4:5], v[104:105], v[104:105]                // 0000000047F4: D3B14004 1802D168
	v_pk_mul_f32 v[6:7], v[106:107], v[106:107]                // 0000000047FC: D3B14006 1802D56A
	v_pk_fma_f32 v[4:5], v[4:5], s[78:79], v[8:9]              // 000000004804: D3B04004 1C209D04
	v_pk_fma_f32 v[6:7], v[6:7], s[78:79], v[8:9]              // 00000000480C: D3B04006 1C209D06
	v_pk_mul_f32 v[4:5], v[4:5], v[104:105]                    // 000000004814: D3B14004 1802D104
	v_pk_mul_f32 v[6:7], v[6:7], v[106:107]                    // 00000000481C: D3B14006 1802D506
	v_pk_mul_f32 v[4:5], v[4:5], s[60:61]                      // 000000004824: D3B14004 18007904
	v_pk_mul_f32 v[6:7], v[6:7], s[60:61]                      // 00000000482C: D3B14006 18007906
	v_exp_f32_e32 v4, v4                                       // 000000004834: 7E084104
	v_exp_f32_e32 v5, v5                                       // 000000004838: 7E0A4105
	v_exp_f32_e32 v6, v6                                       // 00000000483C: 7E0C4106
	v_exp_f32_e32 v7, v7                                       // 000000004840: 7E0E4107
	v_add_f32_e64 v4, v4, 1.0                                  // 000000004844: D1010004 0001E504
	v_add_f32_e64 v5, v5, 1.0                                  // 00000000484C: D1010005 0001E505
	v_add_f32_e64 v6, v6, 1.0                                  // 000000004854: D1010006 0001E506
	v_add_f32_e64 v7, v7, 1.0                                  // 00000000485C: D1010007 0001E507
	v_rcp_f32_e32 v4, v4                                       // 000000004864: 7E084504
	v_rcp_f32_e32 v5, v5                                       // 000000004868: 7E0A4505
	v_rcp_f32_e32 v6, v6                                       // 00000000486C: 7E0C4506
	v_rcp_f32_e32 v7, v7                                       // 000000004870: 7E0E4507
	v_mul_f32_e32 v104, v104, v4                               // 000000004874: 0AD00968
	v_mul_f32_e32 v105, v105, v5                               // 000000004878: 0AD20B69
	v_mul_f32_e32 v106, v106, v6                               // 00000000487C: 0AD40D6A
	v_mul_f32_e32 v107, v107, v7                               // 000000004880: 0AD60F6B
	v_mul_f32_e32 v104, v104, v140                             // 000000004884: 0AD11968
	v_mul_f32_e32 v105, v105, v141                             // 000000004888: 0AD31B69
	v_mul_f32_e32 v106, v106, v142                             // 00000000488C: 0AD51D6A
	v_mul_f32_e32 v107, v107, v143                             // 000000004890: 0AD71F6B
	v_pk_mul_f32 v[4:5], v[108:109], v[108:109]                // 000000004894: D3B14004 1802D96C
	v_pk_mul_f32 v[6:7], v[110:111], v[110:111]                // 00000000489C: D3B14006 1802DD6E
	v_pk_fma_f32 v[4:5], v[4:5], s[78:79], v[8:9]              // 0000000048A4: D3B04004 1C209D04
	v_pk_fma_f32 v[6:7], v[6:7], s[78:79], v[8:9]              // 0000000048AC: D3B04006 1C209D06
	v_pk_mul_f32 v[4:5], v[4:5], v[108:109]                    // 0000000048B4: D3B14004 1802D904
	v_pk_mul_f32 v[6:7], v[6:7], v[110:111]                    // 0000000048BC: D3B14006 1802DD06
	v_pk_mul_f32 v[4:5], v[4:5], s[60:61]                      // 0000000048C4: D3B14004 18007904
	v_pk_mul_f32 v[6:7], v[6:7], s[60:61]                      // 0000000048CC: D3B14006 18007906
	v_exp_f32_e32 v4, v4                                       // 0000000048D4: 7E084104
	v_exp_f32_e32 v5, v5                                       // 0000000048D8: 7E0A4105
	v_exp_f32_e32 v6, v6                                       // 0000000048DC: 7E0C4106
	v_exp_f32_e32 v7, v7                                       // 0000000048E0: 7E0E4107
	v_add_f32_e64 v4, v4, 1.0                                  // 0000000048E4: D1010004 0001E504
	v_add_f32_e64 v5, v5, 1.0                                  // 0000000048EC: D1010005 0001E505
	v_add_f32_e64 v6, v6, 1.0                                  // 0000000048F4: D1010006 0001E506
	v_add_f32_e64 v7, v7, 1.0                                  // 0000000048FC: D1010007 0001E507
	v_rcp_f32_e32 v4, v4                                       // 000000004904: 7E084504
	v_rcp_f32_e32 v5, v5                                       // 000000004908: 7E0A4505
	v_rcp_f32_e32 v6, v6                                       // 00000000490C: 7E0C4506
	v_rcp_f32_e32 v7, v7                                       // 000000004910: 7E0E4507
	v_mul_f32_e32 v108, v108, v4                               // 000000004914: 0AD8096C
	v_mul_f32_e32 v109, v109, v5                               // 000000004918: 0ADA0B6D
	v_mul_f32_e32 v110, v110, v6                               // 00000000491C: 0ADC0D6E
	v_mul_f32_e32 v111, v111, v7                               // 000000004920: 0ADE0F6F
	v_mul_f32_e32 v108, v108, v144                             // 000000004924: 0AD9216C
	v_mul_f32_e32 v109, v109, v145                             // 000000004928: 0ADB236D
	v_mul_f32_e32 v110, v110, v146                             // 00000000492C: 0ADD256E
	v_mul_f32_e32 v111, v111, v147                             // 000000004930: 0ADF276F
	v_pk_mul_f32 v[4:5], v[112:113], v[112:113]                // 000000004934: D3B14004 1802E170
	v_pk_mul_f32 v[6:7], v[114:115], v[114:115]                // 00000000493C: D3B14006 1802E572
	v_pk_fma_f32 v[4:5], v[4:5], s[78:79], v[8:9]              // 000000004944: D3B04004 1C209D04
	v_pk_fma_f32 v[6:7], v[6:7], s[78:79], v[8:9]              // 00000000494C: D3B04006 1C209D06
	v_pk_mul_f32 v[4:5], v[4:5], v[112:113]                    // 000000004954: D3B14004 1802E104
	v_pk_mul_f32 v[6:7], v[6:7], v[114:115]                    // 00000000495C: D3B14006 1802E506
	v_pk_mul_f32 v[4:5], v[4:5], s[60:61]                      // 000000004964: D3B14004 18007904
	v_pk_mul_f32 v[6:7], v[6:7], s[60:61]                      // 00000000496C: D3B14006 18007906
	v_exp_f32_e32 v4, v4                                       // 000000004974: 7E084104
	v_exp_f32_e32 v5, v5                                       // 000000004978: 7E0A4105
	v_exp_f32_e32 v6, v6                                       // 00000000497C: 7E0C4106
	v_exp_f32_e32 v7, v7                                       // 000000004980: 7E0E4107
	v_add_f32_e64 v4, v4, 1.0                                  // 000000004984: D1010004 0001E504
	v_add_f32_e64 v5, v5, 1.0                                  // 00000000498C: D1010005 0001E505
	v_add_f32_e64 v6, v6, 1.0                                  // 000000004994: D1010006 0001E506
	v_add_f32_e64 v7, v7, 1.0                                  // 00000000499C: D1010007 0001E507
	v_rcp_f32_e32 v4, v4                                       // 0000000049A4: 7E084504
	v_rcp_f32_e32 v5, v5                                       // 0000000049A8: 7E0A4505
	v_rcp_f32_e32 v6, v6                                       // 0000000049AC: 7E0C4506
	v_rcp_f32_e32 v7, v7                                       // 0000000049B0: 7E0E4507
	v_mul_f32_e32 v112, v112, v4                               // 0000000049B4: 0AE00970
	v_mul_f32_e32 v113, v113, v5                               // 0000000049B8: 0AE20B71
	v_mul_f32_e32 v114, v114, v6                               // 0000000049BC: 0AE40D72
	v_mul_f32_e32 v115, v115, v7                               // 0000000049C0: 0AE60F73
	v_mul_f32_e32 v112, v112, v148                             // 0000000049C4: 0AE12970
	v_mul_f32_e32 v113, v113, v149                             // 0000000049C8: 0AE32B71
	v_mul_f32_e32 v114, v114, v150                             // 0000000049CC: 0AE52D72
	v_mul_f32_e32 v115, v115, v151                             // 0000000049D0: 0AE72F73
	v_pk_mul_f32 v[4:5], v[116:117], v[116:117]                // 0000000049D4: D3B14004 1802E974
	v_pk_mul_f32 v[6:7], v[118:119], v[118:119]                // 0000000049DC: D3B14006 1802ED76
	v_pk_fma_f32 v[4:5], v[4:5], s[78:79], v[8:9]              // 0000000049E4: D3B04004 1C209D04
	v_pk_fma_f32 v[6:7], v[6:7], s[78:79], v[8:9]              // 0000000049EC: D3B04006 1C209D06
	v_pk_mul_f32 v[4:5], v[4:5], v[116:117]                    // 0000000049F4: D3B14004 1802E904
	v_pk_mul_f32 v[6:7], v[6:7], v[118:119]                    // 0000000049FC: D3B14006 1802ED06
	v_pk_mul_f32 v[4:5], v[4:5], s[60:61]                      // 000000004A04: D3B14004 18007904
	v_pk_mul_f32 v[6:7], v[6:7], s[60:61]                      // 000000004A0C: D3B14006 18007906
	v_exp_f32_e32 v4, v4                                       // 000000004A14: 7E084104
	v_exp_f32_e32 v5, v5                                       // 000000004A18: 7E0A4105
	v_exp_f32_e32 v6, v6                                       // 000000004A1C: 7E0C4106
	v_exp_f32_e32 v7, v7                                       // 000000004A20: 7E0E4107
	v_add_f32_e64 v4, v4, 1.0                                  // 000000004A24: D1010004 0001E504
	v_add_f32_e64 v5, v5, 1.0                                  // 000000004A2C: D1010005 0001E505
	v_add_f32_e64 v6, v6, 1.0                                  // 000000004A34: D1010006 0001E506
	v_add_f32_e64 v7, v7, 1.0                                  // 000000004A3C: D1010007 0001E507
	v_rcp_f32_e32 v4, v4                                       // 000000004A44: 7E084504
	v_rcp_f32_e32 v5, v5                                       // 000000004A48: 7E0A4505
	v_rcp_f32_e32 v6, v6                                       // 000000004A4C: 7E0C4506
	v_rcp_f32_e32 v7, v7                                       // 000000004A50: 7E0E4507
	v_mul_f32_e32 v116, v116, v4                               // 000000004A54: 0AE80974
	v_mul_f32_e32 v117, v117, v5                               // 000000004A58: 0AEA0B75
	v_mul_f32_e32 v118, v118, v6                               // 000000004A5C: 0AEC0D76
	v_mul_f32_e32 v119, v119, v7                               // 000000004A60: 0AEE0F77
	v_mul_f32_e32 v116, v116, v152                             // 000000004A64: 0AE93174
	v_mul_f32_e32 v117, v117, v153                             // 000000004A68: 0AEB3375
	v_mul_f32_e32 v118, v118, v154                             // 000000004A6C: 0AED3576
	v_mul_f32_e32 v119, v119, v155                             // 000000004A70: 0AEF3777
	s_branch label_093E                                        // 000000004A74: BF820120

0000000000004a78 <label_081E>:
	v_mul_f32_e64 v4, -v84, s6                                 // 000000004A78: D1050004 20000D54
	v_mul_f32_e64 v5, -v85, s6                                 // 000000004A80: D1050005 20000D55
	v_mul_f32_e64 v6, -v86, s6                                 // 000000004A88: D1050006 20000D56
	v_mul_f32_e64 v7, -v87, s6                                 // 000000004A90: D1050007 20000D57
	v_exp_f32_e32 v4, v4                                       // 000000004A98: 7E084104
	v_exp_f32_e32 v5, v5                                       // 000000004A9C: 7E0A4105
	v_exp_f32_e32 v6, v6                                       // 000000004AA0: 7E0C4106
	v_exp_f32_e32 v7, v7                                       // 000000004AA4: 7E0E4107
	v_add_f32_e64 v4, v4, 1.0                                  // 000000004AA8: D1010004 0001E504
	v_add_f32_e64 v5, v5, 1.0                                  // 000000004AB0: D1010005 0001E505
	v_add_f32_e64 v6, v6, 1.0                                  // 000000004AB8: D1010006 0001E506
	v_add_f32_e64 v7, v7, 1.0                                  // 000000004AC0: D1010007 0001E507
	v_rcp_f32_e32 v4, v4                                       // 000000004AC8: 7E084504
	v_rcp_f32_e32 v5, v5                                       // 000000004ACC: 7E0A4505
	v_rcp_f32_e32 v6, v6                                       // 000000004AD0: 7E0C4506
	v_rcp_f32_e32 v7, v7                                       // 000000004AD4: 7E0E4507
	v_mul_f32_e32 v84, v84, v4                                 // 000000004AD8: 0AA80954
	v_mul_f32_e32 v85, v85, v5                                 // 000000004ADC: 0AAA0B55
	v_mul_f32_e32 v86, v86, v6                                 // 000000004AE0: 0AAC0D56
	v_mul_f32_e32 v87, v87, v7                                 // 000000004AE4: 0AAE0F57
	v_mul_f32_e32 v84, v84, v120                               // 000000004AE8: 0AA8F154
	v_mul_f32_e32 v85, v85, v121                               // 000000004AEC: 0AAAF355
	v_mul_f32_e32 v86, v86, v122                               // 000000004AF0: 0AACF556
	v_mul_f32_e32 v87, v87, v123                               // 000000004AF4: 0AAEF757
	v_mul_f32_e64 v4, -v88, s6                                 // 000000004AF8: D1050004 20000D58
	v_mul_f32_e64 v5, -v89, s6                                 // 000000004B00: D1050005 20000D59
	v_mul_f32_e64 v6, -v90, s6                                 // 000000004B08: D1050006 20000D5A
	v_mul_f32_e64 v7, -v91, s6                                 // 000000004B10: D1050007 20000D5B
	v_exp_f32_e32 v4, v4                                       // 000000004B18: 7E084104
	v_exp_f32_e32 v5, v5                                       // 000000004B1C: 7E0A4105
	v_exp_f32_e32 v6, v6                                       // 000000004B20: 7E0C4106
	v_exp_f32_e32 v7, v7                                       // 000000004B24: 7E0E4107
	v_add_f32_e64 v4, v4, 1.0                                  // 000000004B28: D1010004 0001E504
	v_add_f32_e64 v5, v5, 1.0                                  // 000000004B30: D1010005 0001E505
	v_add_f32_e64 v6, v6, 1.0                                  // 000000004B38: D1010006 0001E506
	v_add_f32_e64 v7, v7, 1.0                                  // 000000004B40: D1010007 0001E507
	v_rcp_f32_e32 v4, v4                                       // 000000004B48: 7E084504
	v_rcp_f32_e32 v5, v5                                       // 000000004B4C: 7E0A4505
	v_rcp_f32_e32 v6, v6                                       // 000000004B50: 7E0C4506
	v_rcp_f32_e32 v7, v7                                       // 000000004B54: 7E0E4507
	v_mul_f32_e32 v88, v88, v4                                 // 000000004B58: 0AB00958
	v_mul_f32_e32 v89, v89, v5                                 // 000000004B5C: 0AB20B59
	v_mul_f32_e32 v90, v90, v6                                 // 000000004B60: 0AB40D5A
	v_mul_f32_e32 v91, v91, v7                                 // 000000004B64: 0AB60F5B
	v_mul_f32_e32 v88, v88, v124                               // 000000004B68: 0AB0F958
	v_mul_f32_e32 v89, v89, v125                               // 000000004B6C: 0AB2FB59
	v_mul_f32_e32 v90, v90, v126                               // 000000004B70: 0AB4FD5A
	v_mul_f32_e32 v91, v91, v127                               // 000000004B74: 0AB6FF5B
	v_mul_f32_e64 v4, -v92, s6                                 // 000000004B78: D1050004 20000D5C
	v_mul_f32_e64 v5, -v93, s6                                 // 000000004B80: D1050005 20000D5D
	v_mul_f32_e64 v6, -v94, s6                                 // 000000004B88: D1050006 20000D5E
	v_mul_f32_e64 v7, -v95, s6                                 // 000000004B90: D1050007 20000D5F
	v_exp_f32_e32 v4, v4                                       // 000000004B98: 7E084104
	v_exp_f32_e32 v5, v5                                       // 000000004B9C: 7E0A4105
	v_exp_f32_e32 v6, v6                                       // 000000004BA0: 7E0C4106
	v_exp_f32_e32 v7, v7                                       // 000000004BA4: 7E0E4107
	v_add_f32_e64 v4, v4, 1.0                                  // 000000004BA8: D1010004 0001E504
	v_add_f32_e64 v5, v5, 1.0                                  // 000000004BB0: D1010005 0001E505
	v_add_f32_e64 v6, v6, 1.0                                  // 000000004BB8: D1010006 0001E506
	v_add_f32_e64 v7, v7, 1.0                                  // 000000004BC0: D1010007 0001E507
	v_rcp_f32_e32 v4, v4                                       // 000000004BC8: 7E084504
	v_rcp_f32_e32 v5, v5                                       // 000000004BCC: 7E0A4505
	v_rcp_f32_e32 v6, v6                                       // 000000004BD0: 7E0C4506
	v_rcp_f32_e32 v7, v7                                       // 000000004BD4: 7E0E4507
	v_mul_f32_e32 v92, v92, v4                                 // 000000004BD8: 0AB8095C
	v_mul_f32_e32 v93, v93, v5                                 // 000000004BDC: 0ABA0B5D
	v_mul_f32_e32 v94, v94, v6                                 // 000000004BE0: 0ABC0D5E
	v_mul_f32_e32 v95, v95, v7                                 // 000000004BE4: 0ABE0F5F
	v_mul_f32_e32 v92, v92, v128                               // 000000004BE8: 0AB9015C
	v_mul_f32_e32 v93, v93, v129                               // 000000004BEC: 0ABB035D
	v_mul_f32_e32 v94, v94, v130                               // 000000004BF0: 0ABD055E
	v_mul_f32_e32 v95, v95, v131                               // 000000004BF4: 0ABF075F
	v_mul_f32_e64 v4, -v96, s6                                 // 000000004BF8: D1050004 20000D60
	v_mul_f32_e64 v5, -v97, s6                                 // 000000004C00: D1050005 20000D61
	v_mul_f32_e64 v6, -v98, s6                                 // 000000004C08: D1050006 20000D62
	v_mul_f32_e64 v7, -v99, s6                                 // 000000004C10: D1050007 20000D63
	v_exp_f32_e32 v4, v4                                       // 000000004C18: 7E084104
	v_exp_f32_e32 v5, v5                                       // 000000004C1C: 7E0A4105
	v_exp_f32_e32 v6, v6                                       // 000000004C20: 7E0C4106
	v_exp_f32_e32 v7, v7                                       // 000000004C24: 7E0E4107
	v_add_f32_e64 v4, v4, 1.0                                  // 000000004C28: D1010004 0001E504
	v_add_f32_e64 v5, v5, 1.0                                  // 000000004C30: D1010005 0001E505
	v_add_f32_e64 v6, v6, 1.0                                  // 000000004C38: D1010006 0001E506
	v_add_f32_e64 v7, v7, 1.0                                  // 000000004C40: D1010007 0001E507
	v_rcp_f32_e32 v4, v4                                       // 000000004C48: 7E084504
	v_rcp_f32_e32 v5, v5                                       // 000000004C4C: 7E0A4505
	v_rcp_f32_e32 v6, v6                                       // 000000004C50: 7E0C4506
	v_rcp_f32_e32 v7, v7                                       // 000000004C54: 7E0E4507
	v_mul_f32_e32 v96, v96, v4                                 // 000000004C58: 0AC00960
	v_mul_f32_e32 v97, v97, v5                                 // 000000004C5C: 0AC20B61
	v_mul_f32_e32 v98, v98, v6                                 // 000000004C60: 0AC40D62
	v_mul_f32_e32 v99, v99, v7                                 // 000000004C64: 0AC60F63
	v_mul_f32_e32 v96, v96, v132                               // 000000004C68: 0AC10960
	v_mul_f32_e32 v97, v97, v133                               // 000000004C6C: 0AC30B61
	v_mul_f32_e32 v98, v98, v134                               // 000000004C70: 0AC50D62
	v_mul_f32_e32 v99, v99, v135                               // 000000004C74: 0AC70F63
	v_mul_f32_e64 v4, -v100, s6                                // 000000004C78: D1050004 20000D64
	v_mul_f32_e64 v5, -v101, s6                                // 000000004C80: D1050005 20000D65
	v_mul_f32_e64 v6, -v102, s6                                // 000000004C88: D1050006 20000D66
	v_mul_f32_e64 v7, -v103, s6                                // 000000004C90: D1050007 20000D67
	v_exp_f32_e32 v4, v4                                       // 000000004C98: 7E084104
	v_exp_f32_e32 v5, v5                                       // 000000004C9C: 7E0A4105
	v_exp_f32_e32 v6, v6                                       // 000000004CA0: 7E0C4106
	v_exp_f32_e32 v7, v7                                       // 000000004CA4: 7E0E4107
	v_add_f32_e64 v4, v4, 1.0                                  // 000000004CA8: D1010004 0001E504
	v_add_f32_e64 v5, v5, 1.0                                  // 000000004CB0: D1010005 0001E505
	v_add_f32_e64 v6, v6, 1.0                                  // 000000004CB8: D1010006 0001E506
	v_add_f32_e64 v7, v7, 1.0                                  // 000000004CC0: D1010007 0001E507
	v_rcp_f32_e32 v4, v4                                       // 000000004CC8: 7E084504
	v_rcp_f32_e32 v5, v5                                       // 000000004CCC: 7E0A4505
	v_rcp_f32_e32 v6, v6                                       // 000000004CD0: 7E0C4506
	v_rcp_f32_e32 v7, v7                                       // 000000004CD4: 7E0E4507
	v_mul_f32_e32 v100, v100, v4                               // 000000004CD8: 0AC80964
	v_mul_f32_e32 v101, v101, v5                               // 000000004CDC: 0ACA0B65
	v_mul_f32_e32 v102, v102, v6                               // 000000004CE0: 0ACC0D66
	v_mul_f32_e32 v103, v103, v7                               // 000000004CE4: 0ACE0F67
	v_mul_f32_e32 v100, v100, v136                             // 000000004CE8: 0AC91164
	v_mul_f32_e32 v101, v101, v137                             // 000000004CEC: 0ACB1365
	v_mul_f32_e32 v102, v102, v138                             // 000000004CF0: 0ACD1566
	v_mul_f32_e32 v103, v103, v139                             // 000000004CF4: 0ACF1767
	v_mul_f32_e64 v4, -v104, s6                                // 000000004CF8: D1050004 20000D68
	v_mul_f32_e64 v5, -v105, s6                                // 000000004D00: D1050005 20000D69
	v_mul_f32_e64 v6, -v106, s6                                // 000000004D08: D1050006 20000D6A
	v_mul_f32_e64 v7, -v107, s6                                // 000000004D10: D1050007 20000D6B
	v_exp_f32_e32 v4, v4                                       // 000000004D18: 7E084104
	v_exp_f32_e32 v5, v5                                       // 000000004D1C: 7E0A4105
	v_exp_f32_e32 v6, v6                                       // 000000004D20: 7E0C4106
	v_exp_f32_e32 v7, v7                                       // 000000004D24: 7E0E4107
	v_add_f32_e64 v4, v4, 1.0                                  // 000000004D28: D1010004 0001E504
	v_add_f32_e64 v5, v5, 1.0                                  // 000000004D30: D1010005 0001E505
	v_add_f32_e64 v6, v6, 1.0                                  // 000000004D38: D1010006 0001E506
	v_add_f32_e64 v7, v7, 1.0                                  // 000000004D40: D1010007 0001E507
	v_rcp_f32_e32 v4, v4                                       // 000000004D48: 7E084504
	v_rcp_f32_e32 v5, v5                                       // 000000004D4C: 7E0A4505
	v_rcp_f32_e32 v6, v6                                       // 000000004D50: 7E0C4506
	v_rcp_f32_e32 v7, v7                                       // 000000004D54: 7E0E4507
	v_mul_f32_e32 v104, v104, v4                               // 000000004D58: 0AD00968
	v_mul_f32_e32 v105, v105, v5                               // 000000004D5C: 0AD20B69
	v_mul_f32_e32 v106, v106, v6                               // 000000004D60: 0AD40D6A
	v_mul_f32_e32 v107, v107, v7                               // 000000004D64: 0AD60F6B
	v_mul_f32_e32 v104, v104, v140                             // 000000004D68: 0AD11968
	v_mul_f32_e32 v105, v105, v141                             // 000000004D6C: 0AD31B69
	v_mul_f32_e32 v106, v106, v142                             // 000000004D70: 0AD51D6A
	v_mul_f32_e32 v107, v107, v143                             // 000000004D74: 0AD71F6B
	v_mul_f32_e64 v4, -v108, s6                                // 000000004D78: D1050004 20000D6C
	v_mul_f32_e64 v5, -v109, s6                                // 000000004D80: D1050005 20000D6D
	v_mul_f32_e64 v6, -v110, s6                                // 000000004D88: D1050006 20000D6E
	v_mul_f32_e64 v7, -v111, s6                                // 000000004D90: D1050007 20000D6F
	v_exp_f32_e32 v4, v4                                       // 000000004D98: 7E084104
	v_exp_f32_e32 v5, v5                                       // 000000004D9C: 7E0A4105
	v_exp_f32_e32 v6, v6                                       // 000000004DA0: 7E0C4106
	v_exp_f32_e32 v7, v7                                       // 000000004DA4: 7E0E4107
	v_add_f32_e64 v4, v4, 1.0                                  // 000000004DA8: D1010004 0001E504
	v_add_f32_e64 v5, v5, 1.0                                  // 000000004DB0: D1010005 0001E505
	v_add_f32_e64 v6, v6, 1.0                                  // 000000004DB8: D1010006 0001E506
	v_add_f32_e64 v7, v7, 1.0                                  // 000000004DC0: D1010007 0001E507
	v_rcp_f32_e32 v4, v4                                       // 000000004DC8: 7E084504
	v_rcp_f32_e32 v5, v5                                       // 000000004DCC: 7E0A4505
	v_rcp_f32_e32 v6, v6                                       // 000000004DD0: 7E0C4506
	v_rcp_f32_e32 v7, v7                                       // 000000004DD4: 7E0E4507
	v_mul_f32_e32 v108, v108, v4                               // 000000004DD8: 0AD8096C
	v_mul_f32_e32 v109, v109, v5                               // 000000004DDC: 0ADA0B6D
	v_mul_f32_e32 v110, v110, v6                               // 000000004DE0: 0ADC0D6E
	v_mul_f32_e32 v111, v111, v7                               // 000000004DE4: 0ADE0F6F
	v_mul_f32_e32 v108, v108, v144                             // 000000004DE8: 0AD9216C
	v_mul_f32_e32 v109, v109, v145                             // 000000004DEC: 0ADB236D
	v_mul_f32_e32 v110, v110, v146                             // 000000004DF0: 0ADD256E
	v_mul_f32_e32 v111, v111, v147                             // 000000004DF4: 0ADF276F
	v_mul_f32_e64 v4, -v112, s6                                // 000000004DF8: D1050004 20000D70
	v_mul_f32_e64 v5, -v113, s6                                // 000000004E00: D1050005 20000D71
	v_mul_f32_e64 v6, -v114, s6                                // 000000004E08: D1050006 20000D72
	v_mul_f32_e64 v7, -v115, s6                                // 000000004E10: D1050007 20000D73
	v_exp_f32_e32 v4, v4                                       // 000000004E18: 7E084104
	v_exp_f32_e32 v5, v5                                       // 000000004E1C: 7E0A4105
	v_exp_f32_e32 v6, v6                                       // 000000004E20: 7E0C4106
	v_exp_f32_e32 v7, v7                                       // 000000004E24: 7E0E4107
	v_add_f32_e64 v4, v4, 1.0                                  // 000000004E28: D1010004 0001E504
	v_add_f32_e64 v5, v5, 1.0                                  // 000000004E30: D1010005 0001E505
	v_add_f32_e64 v6, v6, 1.0                                  // 000000004E38: D1010006 0001E506
	v_add_f32_e64 v7, v7, 1.0                                  // 000000004E40: D1010007 0001E507
	v_rcp_f32_e32 v4, v4                                       // 000000004E48: 7E084504
	v_rcp_f32_e32 v5, v5                                       // 000000004E4C: 7E0A4505
	v_rcp_f32_e32 v6, v6                                       // 000000004E50: 7E0C4506
	v_rcp_f32_e32 v7, v7                                       // 000000004E54: 7E0E4507
	v_mul_f32_e32 v112, v112, v4                               // 000000004E58: 0AE00970
	v_mul_f32_e32 v113, v113, v5                               // 000000004E5C: 0AE20B71
	v_mul_f32_e32 v114, v114, v6                               // 000000004E60: 0AE40D72
	v_mul_f32_e32 v115, v115, v7                               // 000000004E64: 0AE60F73
	v_mul_f32_e32 v112, v112, v148                             // 000000004E68: 0AE12970
	v_mul_f32_e32 v113, v113, v149                             // 000000004E6C: 0AE32B71
	v_mul_f32_e32 v114, v114, v150                             // 000000004E70: 0AE52D72
	v_mul_f32_e32 v115, v115, v151                             // 000000004E74: 0AE72F73
	v_mul_f32_e64 v4, -v116, s6                                // 000000004E78: D1050004 20000D74
	v_mul_f32_e64 v5, -v117, s6                                // 000000004E80: D1050005 20000D75
	v_mul_f32_e64 v6, -v118, s6                                // 000000004E88: D1050006 20000D76
	v_mul_f32_e64 v7, -v119, s6                                // 000000004E90: D1050007 20000D77
	v_exp_f32_e32 v4, v4                                       // 000000004E98: 7E084104
	v_exp_f32_e32 v5, v5                                       // 000000004E9C: 7E0A4105
	v_exp_f32_e32 v6, v6                                       // 000000004EA0: 7E0C4106
	v_exp_f32_e32 v7, v7                                       // 000000004EA4: 7E0E4107
	v_add_f32_e64 v4, v4, 1.0                                  // 000000004EA8: D1010004 0001E504
	v_add_f32_e64 v5, v5, 1.0                                  // 000000004EB0: D1010005 0001E505
	v_add_f32_e64 v6, v6, 1.0                                  // 000000004EB8: D1010006 0001E506
	v_add_f32_e64 v7, v7, 1.0                                  // 000000004EC0: D1010007 0001E507
	v_rcp_f32_e32 v4, v4                                       // 000000004EC8: 7E084504
	v_rcp_f32_e32 v5, v5                                       // 000000004ECC: 7E0A4505
	v_rcp_f32_e32 v6, v6                                       // 000000004ED0: 7E0C4506
	v_rcp_f32_e32 v7, v7                                       // 000000004ED4: 7E0E4507
	v_mul_f32_e32 v116, v116, v4                               // 000000004ED8: 0AE80974
	v_mul_f32_e32 v117, v117, v5                               // 000000004EDC: 0AEA0B75
	v_mul_f32_e32 v118, v118, v6                               // 000000004EE0: 0AEC0D76
	v_mul_f32_e32 v119, v119, v7                               // 000000004EE4: 0AEE0F77
	v_mul_f32_e32 v116, v116, v152                             // 000000004EE8: 0AE93174
	v_mul_f32_e32 v117, v117, v153                             // 000000004EEC: 0AEB3375
	v_mul_f32_e32 v118, v118, v154                             // 000000004EF0: 0AED3576
	v_mul_f32_e32 v119, v119, v155                             // 000000004EF4: 0AEF3777

0000000000004ef8 <label_093E>:
	v_cmp_u_f32_e64 s[46:47], v84, v84                         // 000000004EF8: D048002E 0002A954
	v_add3_u32 v16, v84, v19, 1                                // 000000004F00: D1FF0010 02062754
	v_cndmask_b32_e64 v4, v16, v18, s[46:47]                   // 000000004F08: D1000004 00BA2510
	v_cmp_u_f32_e64 s[46:47], v85, v85                         // 000000004F10: D048002E 0002AB55
	v_add3_u32 v16, v85, v19, 1                                // 000000004F18: D1FF0010 02062755
	v_cndmask_b32_e64 v5, v16, v18, s[46:47]                   // 000000004F20: D1000005 00BA2510
	v_perm_b32 v84, v5, v4, s52                                // 000000004F28: D1ED0054 00D20905
	v_cmp_u_f32_e64 s[46:47], v86, v86                         // 000000004F30: D048002E 0002AD56
	v_add3_u32 v16, v86, v19, 1                                // 000000004F38: D1FF0010 02062756
	v_cndmask_b32_e64 v4, v16, v18, s[46:47]                   // 000000004F40: D1000004 00BA2510
	v_cmp_u_f32_e64 s[46:47], v87, v87                         // 000000004F48: D048002E 0002AF57
	v_add3_u32 v16, v87, v19, 1                                // 000000004F50: D1FF0010 02062757
	v_cndmask_b32_e64 v5, v16, v18, s[46:47]                   // 000000004F58: D1000005 00BA2510
	v_perm_b32 v85, v5, v4, s52                                // 000000004F60: D1ED0055 00D20905
	v_cmp_u_f32_e64 s[46:47], v88, v88                         // 000000004F68: D048002E 0002B158
	v_add3_u32 v16, v88, v19, 1                                // 000000004F70: D1FF0010 02062758
	v_cndmask_b32_e64 v4, v16, v18, s[46:47]                   // 000000004F78: D1000004 00BA2510
	v_cmp_u_f32_e64 s[46:47], v89, v89                         // 000000004F80: D048002E 0002B359
	v_add3_u32 v16, v89, v19, 1                                // 000000004F88: D1FF0010 02062759
	v_cndmask_b32_e64 v5, v16, v18, s[46:47]                   // 000000004F90: D1000005 00BA2510
	v_perm_b32 v86, v5, v4, s52                                // 000000004F98: D1ED0056 00D20905
	v_cmp_u_f32_e64 s[46:47], v90, v90                         // 000000004FA0: D048002E 0002B55A
	v_add3_u32 v16, v90, v19, 1                                // 000000004FA8: D1FF0010 0206275A
	v_cndmask_b32_e64 v4, v16, v18, s[46:47]                   // 000000004FB0: D1000004 00BA2510
	v_cmp_u_f32_e64 s[46:47], v91, v91                         // 000000004FB8: D048002E 0002B75B
	v_add3_u32 v16, v91, v19, 1                                // 000000004FC0: D1FF0010 0206275B
	v_cndmask_b32_e64 v5, v16, v18, s[46:47]                   // 000000004FC8: D1000005 00BA2510
	v_perm_b32 v87, v5, v4, s52                                // 000000004FD0: D1ED0057 00D20905
	v_cmp_u_f32_e64 s[46:47], v92, v92                         // 000000004FD8: D048002E 0002B95C
	v_add3_u32 v16, v92, v19, 1                                // 000000004FE0: D1FF0010 0206275C
	v_cndmask_b32_e64 v4, v16, v18, s[46:47]                   // 000000004FE8: D1000004 00BA2510
	v_cmp_u_f32_e64 s[46:47], v93, v93                         // 000000004FF0: D048002E 0002BB5D
	v_add3_u32 v16, v93, v19, 1                                // 000000004FF8: D1FF0010 0206275D
	v_cndmask_b32_e64 v5, v16, v18, s[46:47]                   // 000000005000: D1000005 00BA2510
	v_perm_b32 v88, v5, v4, s52                                // 000000005008: D1ED0058 00D20905
	v_cmp_u_f32_e64 s[46:47], v94, v94                         // 000000005010: D048002E 0002BD5E
	v_add3_u32 v16, v94, v19, 1                                // 000000005018: D1FF0010 0206275E
	v_cndmask_b32_e64 v4, v16, v18, s[46:47]                   // 000000005020: D1000004 00BA2510
	v_cmp_u_f32_e64 s[46:47], v95, v95                         // 000000005028: D048002E 0002BF5F
	v_add3_u32 v16, v95, v19, 1                                // 000000005030: D1FF0010 0206275F
	v_cndmask_b32_e64 v5, v16, v18, s[46:47]                   // 000000005038: D1000005 00BA2510
	v_perm_b32 v89, v5, v4, s52                                // 000000005040: D1ED0059 00D20905
	v_cmp_u_f32_e64 s[46:47], v96, v96                         // 000000005048: D048002E 0002C160
	v_add3_u32 v16, v96, v19, 1                                // 000000005050: D1FF0010 02062760
	v_cndmask_b32_e64 v4, v16, v18, s[46:47]                   // 000000005058: D1000004 00BA2510
	v_cmp_u_f32_e64 s[46:47], v97, v97                         // 000000005060: D048002E 0002C361
	v_add3_u32 v16, v97, v19, 1                                // 000000005068: D1FF0010 02062761
	v_cndmask_b32_e64 v5, v16, v18, s[46:47]                   // 000000005070: D1000005 00BA2510
	v_perm_b32 v90, v5, v4, s52                                // 000000005078: D1ED005A 00D20905
	v_cmp_u_f32_e64 s[46:47], v98, v98                         // 000000005080: D048002E 0002C562
	v_add3_u32 v16, v98, v19, 1                                // 000000005088: D1FF0010 02062762
	v_cndmask_b32_e64 v4, v16, v18, s[46:47]                   // 000000005090: D1000004 00BA2510
	v_cmp_u_f32_e64 s[46:47], v99, v99                         // 000000005098: D048002E 0002C763
	v_add3_u32 v16, v99, v19, 1                                // 0000000050A0: D1FF0010 02062763
	v_cndmask_b32_e64 v5, v16, v18, s[46:47]                   // 0000000050A8: D1000005 00BA2510
	v_perm_b32 v91, v5, v4, s52                                // 0000000050B0: D1ED005B 00D20905
	v_cmp_u_f32_e64 s[46:47], v100, v100                       // 0000000050B8: D048002E 0002C964
	v_add3_u32 v16, v100, v19, 1                               // 0000000050C0: D1FF0010 02062764
	v_cndmask_b32_e64 v4, v16, v18, s[46:47]                   // 0000000050C8: D1000004 00BA2510
	v_cmp_u_f32_e64 s[46:47], v101, v101                       // 0000000050D0: D048002E 0002CB65
	v_add3_u32 v16, v101, v19, 1                               // 0000000050D8: D1FF0010 02062765
	v_cndmask_b32_e64 v5, v16, v18, s[46:47]                   // 0000000050E0: D1000005 00BA2510
	v_perm_b32 v92, v5, v4, s52                                // 0000000050E8: D1ED005C 00D20905
	v_cmp_u_f32_e64 s[46:47], v102, v102                       // 0000000050F0: D048002E 0002CD66
	v_add3_u32 v16, v102, v19, 1                               // 0000000050F8: D1FF0010 02062766
	v_cndmask_b32_e64 v4, v16, v18, s[46:47]                   // 000000005100: D1000004 00BA2510
	v_cmp_u_f32_e64 s[46:47], v103, v103                       // 000000005108: D048002E 0002CF67
	v_add3_u32 v16, v103, v19, 1                               // 000000005110: D1FF0010 02062767
	v_cndmask_b32_e64 v5, v16, v18, s[46:47]                   // 000000005118: D1000005 00BA2510
	v_perm_b32 v93, v5, v4, s52                                // 000000005120: D1ED005D 00D20905
	v_cmp_u_f32_e64 s[46:47], v104, v104                       // 000000005128: D048002E 0002D168
	v_add3_u32 v16, v104, v19, 1                               // 000000005130: D1FF0010 02062768
	v_cndmask_b32_e64 v4, v16, v18, s[46:47]                   // 000000005138: D1000004 00BA2510
	v_cmp_u_f32_e64 s[46:47], v105, v105                       // 000000005140: D048002E 0002D369
	v_add3_u32 v16, v105, v19, 1                               // 000000005148: D1FF0010 02062769
	v_cndmask_b32_e64 v5, v16, v18, s[46:47]                   // 000000005150: D1000005 00BA2510
	v_perm_b32 v94, v5, v4, s52                                // 000000005158: D1ED005E 00D20905
	v_cmp_u_f32_e64 s[46:47], v106, v106                       // 000000005160: D048002E 0002D56A
	v_add3_u32 v16, v106, v19, 1                               // 000000005168: D1FF0010 0206276A
	v_cndmask_b32_e64 v4, v16, v18, s[46:47]                   // 000000005170: D1000004 00BA2510
	v_cmp_u_f32_e64 s[46:47], v107, v107                       // 000000005178: D048002E 0002D76B
	v_add3_u32 v16, v107, v19, 1                               // 000000005180: D1FF0010 0206276B
	v_cndmask_b32_e64 v5, v16, v18, s[46:47]                   // 000000005188: D1000005 00BA2510
	v_perm_b32 v95, v5, v4, s52                                // 000000005190: D1ED005F 00D20905
	v_cmp_u_f32_e64 s[46:47], v108, v108                       // 000000005198: D048002E 0002D96C
	v_add3_u32 v16, v108, v19, 1                               // 0000000051A0: D1FF0010 0206276C
	v_cndmask_b32_e64 v4, v16, v18, s[46:47]                   // 0000000051A8: D1000004 00BA2510
	v_cmp_u_f32_e64 s[46:47], v109, v109                       // 0000000051B0: D048002E 0002DB6D
	v_add3_u32 v16, v109, v19, 1                               // 0000000051B8: D1FF0010 0206276D
	v_cndmask_b32_e64 v5, v16, v18, s[46:47]                   // 0000000051C0: D1000005 00BA2510
	v_perm_b32 v96, v5, v4, s52                                // 0000000051C8: D1ED0060 00D20905
	v_cmp_u_f32_e64 s[46:47], v110, v110                       // 0000000051D0: D048002E 0002DD6E
	v_add3_u32 v16, v110, v19, 1                               // 0000000051D8: D1FF0010 0206276E
	v_cndmask_b32_e64 v4, v16, v18, s[46:47]                   // 0000000051E0: D1000004 00BA2510
	v_cmp_u_f32_e64 s[46:47], v111, v111                       // 0000000051E8: D048002E 0002DF6F
	v_add3_u32 v16, v111, v19, 1                               // 0000000051F0: D1FF0010 0206276F
	v_cndmask_b32_e64 v5, v16, v18, s[46:47]                   // 0000000051F8: D1000005 00BA2510
	v_perm_b32 v97, v5, v4, s52                                // 000000005200: D1ED0061 00D20905
	v_cmp_u_f32_e64 s[46:47], v112, v112                       // 000000005208: D048002E 0002E170
	v_add3_u32 v16, v112, v19, 1                               // 000000005210: D1FF0010 02062770
	v_cndmask_b32_e64 v4, v16, v18, s[46:47]                   // 000000005218: D1000004 00BA2510
	v_cmp_u_f32_e64 s[46:47], v113, v113                       // 000000005220: D048002E 0002E371
	v_add3_u32 v16, v113, v19, 1                               // 000000005228: D1FF0010 02062771
	v_cndmask_b32_e64 v5, v16, v18, s[46:47]                   // 000000005230: D1000005 00BA2510
	v_perm_b32 v98, v5, v4, s52                                // 000000005238: D1ED0062 00D20905
	v_cmp_u_f32_e64 s[46:47], v114, v114                       // 000000005240: D048002E 0002E572
	v_add3_u32 v16, v114, v19, 1                               // 000000005248: D1FF0010 02062772
	v_cndmask_b32_e64 v4, v16, v18, s[46:47]                   // 000000005250: D1000004 00BA2510
	v_cmp_u_f32_e64 s[46:47], v115, v115                       // 000000005258: D048002E 0002E773
	v_add3_u32 v16, v115, v19, 1                               // 000000005260: D1FF0010 02062773
	v_cndmask_b32_e64 v5, v16, v18, s[46:47]                   // 000000005268: D1000005 00BA2510
	v_perm_b32 v99, v5, v4, s52                                // 000000005270: D1ED0063 00D20905
	v_cmp_u_f32_e64 s[46:47], v116, v116                       // 000000005278: D048002E 0002E974
	v_add3_u32 v16, v116, v19, 1                               // 000000005280: D1FF0010 02062774
	v_cndmask_b32_e64 v4, v16, v18, s[46:47]                   // 000000005288: D1000004 00BA2510
	v_cmp_u_f32_e64 s[46:47], v117, v117                       // 000000005290: D048002E 0002EB75
	v_add3_u32 v16, v117, v19, 1                               // 000000005298: D1FF0010 02062775
	v_cndmask_b32_e64 v5, v16, v18, s[46:47]                   // 0000000052A0: D1000005 00BA2510
	v_perm_b32 v100, v5, v4, s52                               // 0000000052A8: D1ED0064 00D20905
	v_cmp_u_f32_e64 s[46:47], v118, v118                       // 0000000052B0: D048002E 0002ED76
	v_add3_u32 v16, v118, v19, 1                               // 0000000052B8: D1FF0010 02062776
	v_cndmask_b32_e64 v4, v16, v18, s[46:47]                   // 0000000052C0: D1000004 00BA2510
	v_cmp_u_f32_e64 s[46:47], v119, v119                       // 0000000052C8: D048002E 0002EF77
	v_add3_u32 v16, v119, v19, 1                               // 0000000052D0: D1FF0010 02062777
	v_cndmask_b32_e64 v5, v16, v18, s[46:47]                   // 0000000052D8: D1000005 00BA2510
	v_perm_b32 v101, v5, v4, s52                               // 0000000052E0: D1ED0065 00D20905
	ds_write_b64 v20, v[84:85]                                 // 0000000052E8: D89A0000 00005414
	ds_write_b64 v20, v[86:87] offset:2176                     // 0000000052F0: D89A0880 00005614
	ds_write_b64 v20, v[88:89] offset:4352                     // 0000000052F8: D89A1100 00005814
	ds_write_b64 v20, v[90:91] offset:6528                     // 000000005300: D89A1980 00005A14
	ds_write_b64 v20, v[92:93] offset:8704                     // 000000005308: D89A2200 00005C14
	ds_write_b64 v20, v[94:95] offset:10880                    // 000000005310: D89A2A80 00005E14
	ds_write_b64 v20, v[96:97] offset:13056                    // 000000005318: D89A3300 00006014
	ds_write_b64 v20, v[98:99] offset:15232                    // 000000005320: D89A3B80 00006214
	ds_write_b64 v20, v[100:101] offset:17408                  // 000000005328: D89A4400 00006414
	v_lshrrev_b32_e32 v4, 5, v0                                // 000000005330: 20080085
	v_xor_b32_e32 v5, 1, v4                                    // 000000005334: 2A0A0881
	s_mul_i32 s60, s65, 2                                      // 000000005338: 923C8241
	s_cmp_eq_u32 s88, 0                                        // 00000000533C: BF068058
	s_cselect_b32 s61, 1, 4                                    // 000000005340: 853D8481
	s_mul_i32 s60, s61, s60                                    // 000000005344: 923C3C3D
	v_readlane_b32 s82, v3, 0                                  // 000000005348: D2890052 00010103
	s_lshr_b32 s61, s82, 24                                    // 000000005350: 8F3D9852
	s_and_b32 s82, s82, 0xffffff                               // 000000005354: 8652FF52 00FFFFFF
	s_mul_i32 s82, s82, s71                                    // 00000000535C: 92524752
	s_mul_i32 s61, s60, s61                                    // 000000005360: 923D3D3C
	s_add_u32 s82, s82, s61                                    // 000000005364: 80523D52
	v_mul_lo_u32 v6, v5, s82                                   // 000000005368: D2850006 0000A505
	v_readlane_b32 s82, v3, 1                                  // 000000005370: D2890052 00010303
	s_lshr_b32 s61, s82, 24                                    // 000000005378: 8F3D9852
	s_and_b32 s82, s82, 0xffffff                               // 00000000537C: 8652FF52 00FFFFFF
	s_mul_i32 s82, s82, s71                                    // 000000005384: 92524752
	s_mul_i32 s61, s60, s61                                    // 000000005388: 923D3D3C
	s_add_u32 s82, s82, s61                                    // 00000000538C: 80523D52
	v_mul_lo_u32 v7, v4, s82                                   // 000000005390: D2850007 0000A504
	v_add_u32_e32 v64, v6, v7                                  // 000000005398: 68800F06
	v_readlane_b32 s82, v3, 2                                  // 00000000539C: D2890052 00010503
	s_lshr_b32 s61, s82, 24                                    // 0000000053A4: 8F3D9852
	s_and_b32 s82, s82, 0xffffff                               // 0000000053A8: 8652FF52 00FFFFFF
	s_mul_i32 s82, s82, s71                                    // 0000000053B0: 92524752
	s_mul_i32 s61, s60, s61                                    // 0000000053B4: 923D3D3C
	s_add_u32 s82, s82, s61                                    // 0000000053B8: 80523D52
	v_mul_lo_u32 v6, v5, s82                                   // 0000000053BC: D2850006 0000A505
	v_readlane_b32 s82, v3, 3                                  // 0000000053C4: D2890052 00010703
	s_lshr_b32 s61, s82, 24                                    // 0000000053CC: 8F3D9852
	s_and_b32 s82, s82, 0xffffff                               // 0000000053D0: 8652FF52 00FFFFFF
	s_mul_i32 s82, s82, s71                                    // 0000000053D8: 92524752
	s_mul_i32 s61, s60, s61                                    // 0000000053DC: 923D3D3C
	s_add_u32 s82, s82, s61                                    // 0000000053E0: 80523D52
	v_mul_lo_u32 v7, v4, s82                                   // 0000000053E4: D2850007 0000A504
	v_add_u32_e32 v65, v6, v7                                  // 0000000053EC: 68820F06
	v_readlane_b32 s82, v3, 4                                  // 0000000053F0: D2890052 00010903
	s_lshr_b32 s61, s82, 24                                    // 0000000053F8: 8F3D9852
	s_and_b32 s82, s82, 0xffffff                               // 0000000053FC: 8652FF52 00FFFFFF
	s_mul_i32 s82, s82, s71                                    // 000000005404: 92524752
	s_mul_i32 s61, s60, s61                                    // 000000005408: 923D3D3C
	s_add_u32 s82, s82, s61                                    // 00000000540C: 80523D52
	v_mul_lo_u32 v6, v5, s82                                   // 000000005410: D2850006 0000A505
	v_readlane_b32 s82, v3, 5                                  // 000000005418: D2890052 00010B03
	s_lshr_b32 s61, s82, 24                                    // 000000005420: 8F3D9852
	s_and_b32 s82, s82, 0xffffff                               // 000000005424: 8652FF52 00FFFFFF
	s_mul_i32 s82, s82, s71                                    // 00000000542C: 92524752
	s_mul_i32 s61, s60, s61                                    // 000000005430: 923D3D3C
	s_add_u32 s82, s82, s61                                    // 000000005434: 80523D52
	v_mul_lo_u32 v7, v4, s82                                   // 000000005438: D2850007 0000A504
	v_add_u32_e32 v66, v6, v7                                  // 000000005440: 68840F06
	v_readlane_b32 s82, v3, 6                                  // 000000005444: D2890052 00010D03
	s_lshr_b32 s61, s82, 24                                    // 00000000544C: 8F3D9852
	s_and_b32 s82, s82, 0xffffff                               // 000000005450: 8652FF52 00FFFFFF
	s_mul_i32 s82, s82, s71                                    // 000000005458: 92524752
	s_mul_i32 s61, s60, s61                                    // 00000000545C: 923D3D3C
	s_add_u32 s82, s82, s61                                    // 000000005460: 80523D52
	v_mul_lo_u32 v6, v5, s82                                   // 000000005464: D2850006 0000A505
	v_readlane_b32 s82, v3, 7                                  // 00000000546C: D2890052 00010F03
	s_lshr_b32 s61, s82, 24                                    // 000000005474: 8F3D9852
	s_and_b32 s82, s82, 0xffffff                               // 000000005478: 8652FF52 00FFFFFF
	s_mul_i32 s82, s82, s71                                    // 000000005480: 92524752
	s_mul_i32 s61, s60, s61                                    // 000000005484: 923D3D3C
	s_add_u32 s82, s82, s61                                    // 000000005488: 80523D52
	v_mul_lo_u32 v7, v4, s82                                   // 00000000548C: D2850007 0000A504
	v_add_u32_e32 v67, v6, v7                                  // 000000005494: 68860F06
	v_readlane_b32 s82, v3, 8                                  // 000000005498: D2890052 00011103
	s_lshr_b32 s61, s82, 24                                    // 0000000054A0: 8F3D9852
	s_and_b32 s82, s82, 0xffffff                               // 0000000054A4: 8652FF52 00FFFFFF
	s_mul_i32 s82, s82, s71                                    // 0000000054AC: 92524752
	s_mul_i32 s61, s60, s61                                    // 0000000054B0: 923D3D3C
	s_add_u32 s82, s82, s61                                    // 0000000054B4: 80523D52
	v_mul_lo_u32 v6, v5, s82                                   // 0000000054B8: D2850006 0000A505
	v_readlane_b32 s82, v3, 9                                  // 0000000054C0: D2890052 00011303
	s_lshr_b32 s61, s82, 24                                    // 0000000054C8: 8F3D9852
	s_and_b32 s82, s82, 0xffffff                               // 0000000054CC: 8652FF52 00FFFFFF
	s_mul_i32 s82, s82, s71                                    // 0000000054D4: 92524752
	s_mul_i32 s61, s60, s61                                    // 0000000054D8: 923D3D3C
	s_add_u32 s82, s82, s61                                    // 0000000054DC: 80523D52
	v_mul_lo_u32 v7, v4, s82                                   // 0000000054E0: D2850007 0000A504
	v_add_u32_e32 v68, v6, v7                                  // 0000000054E8: 68880F06
	v_readlane_b32 s82, v3, 10                                 // 0000000054EC: D2890052 00011503
	s_lshr_b32 s61, s82, 24                                    // 0000000054F4: 8F3D9852
	s_and_b32 s82, s82, 0xffffff                               // 0000000054F8: 8652FF52 00FFFFFF
	s_mul_i32 s82, s82, s71                                    // 000000005500: 92524752
	s_mul_i32 s61, s60, s61                                    // 000000005504: 923D3D3C
	s_add_u32 s82, s82, s61                                    // 000000005508: 80523D52
	v_mul_lo_u32 v6, v5, s82                                   // 00000000550C: D2850006 0000A505
	v_readlane_b32 s82, v3, 11                                 // 000000005514: D2890052 00011703
	s_lshr_b32 s61, s82, 24                                    // 00000000551C: 8F3D9852
	s_and_b32 s82, s82, 0xffffff                               // 000000005520: 8652FF52 00FFFFFF
	s_mul_i32 s82, s82, s71                                    // 000000005528: 92524752
	s_mul_i32 s61, s60, s61                                    // 00000000552C: 923D3D3C
	s_add_u32 s82, s82, s61                                    // 000000005530: 80523D52
	v_mul_lo_u32 v7, v4, s82                                   // 000000005534: D2850007 0000A504
	v_add_u32_e32 v69, v6, v7                                  // 00000000553C: 688A0F06
	v_readlane_b32 s82, v3, 12                                 // 000000005540: D2890052 00011903
	s_lshr_b32 s61, s82, 24                                    // 000000005548: 8F3D9852
	s_and_b32 s82, s82, 0xffffff                               // 00000000554C: 8652FF52 00FFFFFF
	s_mul_i32 s82, s82, s71                                    // 000000005554: 92524752
	s_mul_i32 s61, s60, s61                                    // 000000005558: 923D3D3C
	s_add_u32 s82, s82, s61                                    // 00000000555C: 80523D52
	v_mul_lo_u32 v6, v5, s82                                   // 000000005560: D2850006 0000A505
	v_readlane_b32 s82, v3, 13                                 // 000000005568: D2890052 00011B03
	s_lshr_b32 s61, s82, 24                                    // 000000005570: 8F3D9852
	s_and_b32 s82, s82, 0xffffff                               // 000000005574: 8652FF52 00FFFFFF
	s_mul_i32 s82, s82, s71                                    // 00000000557C: 92524752
	s_mul_i32 s61, s60, s61                                    // 000000005580: 923D3D3C
	s_add_u32 s82, s82, s61                                    // 000000005584: 80523D52
	v_mul_lo_u32 v7, v4, s82                                   // 000000005588: D2850007 0000A504
	v_add_u32_e32 v70, v6, v7                                  // 000000005590: 688C0F06
	v_readlane_b32 s82, v3, 14                                 // 000000005594: D2890052 00011D03
	s_lshr_b32 s61, s82, 24                                    // 00000000559C: 8F3D9852
	s_and_b32 s82, s82, 0xffffff                               // 0000000055A0: 8652FF52 00FFFFFF
	s_mul_i32 s82, s82, s71                                    // 0000000055A8: 92524752
	s_mul_i32 s61, s60, s61                                    // 0000000055AC: 923D3D3C
	s_add_u32 s82, s82, s61                                    // 0000000055B0: 80523D52
	v_mul_lo_u32 v6, v5, s82                                   // 0000000055B4: D2850006 0000A505
	v_readlane_b32 s82, v3, 15                                 // 0000000055BC: D2890052 00011F03
	s_lshr_b32 s61, s82, 24                                    // 0000000055C4: 8F3D9852
	s_and_b32 s82, s82, 0xffffff                               // 0000000055C8: 8652FF52 00FFFFFF
	s_mul_i32 s82, s82, s71                                    // 0000000055D0: 92524752
	s_mul_i32 s61, s60, s61                                    // 0000000055D4: 923D3D3C
	s_add_u32 s82, s82, s61                                    // 0000000055D8: 80523D52
	v_mul_lo_u32 v7, v4, s82                                   // 0000000055DC: D2850007 0000A504
	v_add_u32_e32 v71, v6, v7                                  // 0000000055E4: 688E0F06
	v_readlane_b32 s82, v3, 16                                 // 0000000055E8: D2890052 00012103
	s_lshr_b32 s61, s82, 24                                    // 0000000055F0: 8F3D9852
	s_and_b32 s82, s82, 0xffffff                               // 0000000055F4: 8652FF52 00FFFFFF
	s_mul_i32 s82, s82, s71                                    // 0000000055FC: 92524752
	s_mul_i32 s61, s60, s61                                    // 000000005600: 923D3D3C
	s_add_u32 s82, s82, s61                                    // 000000005604: 80523D52
	v_mul_lo_u32 v6, v5, s82                                   // 000000005608: D2850006 0000A505
	v_readlane_b32 s82, v3, 17                                 // 000000005610: D2890052 00012303
	s_lshr_b32 s61, s82, 24                                    // 000000005618: 8F3D9852
	s_and_b32 s82, s82, 0xffffff                               // 00000000561C: 8652FF52 00FFFFFF
	s_mul_i32 s82, s82, s71                                    // 000000005624: 92524752
	s_mul_i32 s61, s60, s61                                    // 000000005628: 923D3D3C
	s_add_u32 s82, s82, s61                                    // 00000000562C: 80523D52
	v_mul_lo_u32 v7, v4, s82                                   // 000000005630: D2850007 0000A504
	v_add_u32_e32 v72, v6, v7                                  // 000000005638: 68900F06
	v_readlane_b32 s82, v3, 18                                 // 00000000563C: D2890052 00012503
	s_lshr_b32 s61, s82, 24                                    // 000000005644: 8F3D9852
	s_and_b32 s82, s82, 0xffffff                               // 000000005648: 8652FF52 00FFFFFF
	s_mul_i32 s82, s82, s71                                    // 000000005650: 92524752
	s_mul_i32 s61, s60, s61                                    // 000000005654: 923D3D3C
	s_add_u32 s82, s82, s61                                    // 000000005658: 80523D52
	v_mul_lo_u32 v6, v5, s82                                   // 00000000565C: D2850006 0000A505
	v_readlane_b32 s82, v3, 19                                 // 000000005664: D2890052 00012703
	s_lshr_b32 s61, s82, 24                                    // 00000000566C: 8F3D9852
	s_and_b32 s82, s82, 0xffffff                               // 000000005670: 8652FF52 00FFFFFF
	s_mul_i32 s82, s82, s71                                    // 000000005678: 92524752
	s_mul_i32 s61, s60, s61                                    // 00000000567C: 923D3D3C
	s_add_u32 s82, s82, s61                                    // 000000005680: 80523D52
	v_mul_lo_u32 v7, v4, s82                                   // 000000005684: D2850007 0000A504
	v_add_u32_e32 v73, v6, v7                                  // 00000000568C: 68920F06
	v_readlane_b32 s82, v3, 20                                 // 000000005690: D2890052 00012903
	s_lshr_b32 s61, s82, 24                                    // 000000005698: 8F3D9852
	s_and_b32 s82, s82, 0xffffff                               // 00000000569C: 8652FF52 00FFFFFF
	s_mul_i32 s82, s82, s71                                    // 0000000056A4: 92524752
	s_mul_i32 s61, s60, s61                                    // 0000000056A8: 923D3D3C
	s_add_u32 s82, s82, s61                                    // 0000000056AC: 80523D52
	v_mul_lo_u32 v6, v5, s82                                   // 0000000056B0: D2850006 0000A505
	v_readlane_b32 s82, v3, 21                                 // 0000000056B8: D2890052 00012B03
	s_lshr_b32 s61, s82, 24                                    // 0000000056C0: 8F3D9852
	s_and_b32 s82, s82, 0xffffff                               // 0000000056C4: 8652FF52 00FFFFFF
	s_mul_i32 s82, s82, s71                                    // 0000000056CC: 92524752
	s_mul_i32 s61, s60, s61                                    // 0000000056D0: 923D3D3C
	s_add_u32 s82, s82, s61                                    // 0000000056D4: 80523D52
	v_mul_lo_u32 v7, v4, s82                                   // 0000000056D8: D2850007 0000A504
	v_add_u32_e32 v74, v6, v7                                  // 0000000056E0: 68940F06
	v_readlane_b32 s82, v3, 22                                 // 0000000056E4: D2890052 00012D03
	s_lshr_b32 s61, s82, 24                                    // 0000000056EC: 8F3D9852
	s_and_b32 s82, s82, 0xffffff                               // 0000000056F0: 8652FF52 00FFFFFF
	s_mul_i32 s82, s82, s71                                    // 0000000056F8: 92524752
	s_mul_i32 s61, s60, s61                                    // 0000000056FC: 923D3D3C
	s_add_u32 s82, s82, s61                                    // 000000005700: 80523D52
	v_mul_lo_u32 v6, v5, s82                                   // 000000005704: D2850006 0000A505
	v_readlane_b32 s82, v3, 23                                 // 00000000570C: D2890052 00012F03
	s_lshr_b32 s61, s82, 24                                    // 000000005714: 8F3D9852
	s_and_b32 s82, s82, 0xffffff                               // 000000005718: 8652FF52 00FFFFFF
	s_mul_i32 s82, s82, s71                                    // 000000005720: 92524752
	s_mul_i32 s61, s60, s61                                    // 000000005724: 923D3D3C
	s_add_u32 s82, s82, s61                                    // 000000005728: 80523D52
	v_mul_lo_u32 v7, v4, s82                                   // 00000000572C: D2850007 0000A504
	v_add_u32_e32 v75, v6, v7                                  // 000000005734: 68960F06
	v_readlane_b32 s82, v3, 24                                 // 000000005738: D2890052 00013103
	s_lshr_b32 s61, s82, 24                                    // 000000005740: 8F3D9852
	s_and_b32 s82, s82, 0xffffff                               // 000000005744: 8652FF52 00FFFFFF
	s_mul_i32 s82, s82, s71                                    // 00000000574C: 92524752
	s_mul_i32 s61, s60, s61                                    // 000000005750: 923D3D3C
	s_add_u32 s82, s82, s61                                    // 000000005754: 80523D52
	v_mul_lo_u32 v6, v5, s82                                   // 000000005758: D2850006 0000A505
	v_readlane_b32 s82, v3, 25                                 // 000000005760: D2890052 00013303
	s_lshr_b32 s61, s82, 24                                    // 000000005768: 8F3D9852
	s_and_b32 s82, s82, 0xffffff                               // 00000000576C: 8652FF52 00FFFFFF
	s_mul_i32 s82, s82, s71                                    // 000000005774: 92524752
	s_mul_i32 s61, s60, s61                                    // 000000005778: 923D3D3C
	s_add_u32 s82, s82, s61                                    // 00000000577C: 80523D52
	v_mul_lo_u32 v7, v4, s82                                   // 000000005780: D2850007 0000A504
	v_add_u32_e32 v76, v6, v7                                  // 000000005788: 68980F06
	v_readlane_b32 s82, v3, 26                                 // 00000000578C: D2890052 00013503
	s_lshr_b32 s61, s82, 24                                    // 000000005794: 8F3D9852
	s_and_b32 s82, s82, 0xffffff                               // 000000005798: 8652FF52 00FFFFFF
	s_mul_i32 s82, s82, s71                                    // 0000000057A0: 92524752
	s_mul_i32 s61, s60, s61                                    // 0000000057A4: 923D3D3C
	s_add_u32 s82, s82, s61                                    // 0000000057A8: 80523D52
	v_mul_lo_u32 v6, v5, s82                                   // 0000000057AC: D2850006 0000A505
	v_readlane_b32 s82, v3, 27                                 // 0000000057B4: D2890052 00013703
	s_lshr_b32 s61, s82, 24                                    // 0000000057BC: 8F3D9852
	s_and_b32 s82, s82, 0xffffff                               // 0000000057C0: 8652FF52 00FFFFFF
	s_mul_i32 s82, s82, s71                                    // 0000000057C8: 92524752
	s_mul_i32 s61, s60, s61                                    // 0000000057CC: 923D3D3C
	s_add_u32 s82, s82, s61                                    // 0000000057D0: 80523D52
	v_mul_lo_u32 v7, v4, s82                                   // 0000000057D4: D2850007 0000A504
	v_add_u32_e32 v77, v6, v7                                  // 0000000057DC: 689A0F06
	v_readlane_b32 s82, v3, 28                                 // 0000000057E0: D2890052 00013903
	s_lshr_b32 s61, s82, 24                                    // 0000000057E8: 8F3D9852
	s_and_b32 s82, s82, 0xffffff                               // 0000000057EC: 8652FF52 00FFFFFF
	s_mul_i32 s82, s82, s71                                    // 0000000057F4: 92524752
	s_mul_i32 s61, s60, s61                                    // 0000000057F8: 923D3D3C
	s_add_u32 s82, s82, s61                                    // 0000000057FC: 80523D52
	v_mul_lo_u32 v6, v5, s82                                   // 000000005800: D2850006 0000A505
	v_readlane_b32 s82, v3, 29                                 // 000000005808: D2890052 00013B03
	s_lshr_b32 s61, s82, 24                                    // 000000005810: 8F3D9852
	s_and_b32 s82, s82, 0xffffff                               // 000000005814: 8652FF52 00FFFFFF
	s_mul_i32 s82, s82, s71                                    // 00000000581C: 92524752
	s_mul_i32 s61, s60, s61                                    // 000000005820: 923D3D3C
	s_add_u32 s82, s82, s61                                    // 000000005824: 80523D52
	v_mul_lo_u32 v7, v4, s82                                   // 000000005828: D2850007 0000A504
	v_add_u32_e32 v78, v6, v7                                  // 000000005830: 689C0F06
	v_readlane_b32 s82, v3, 30                                 // 000000005834: D2890052 00013D03
	s_lshr_b32 s61, s82, 24                                    // 00000000583C: 8F3D9852
	s_and_b32 s82, s82, 0xffffff                               // 000000005840: 8652FF52 00FFFFFF
	s_mul_i32 s82, s82, s71                                    // 000000005848: 92524752
	s_mul_i32 s61, s60, s61                                    // 00000000584C: 923D3D3C
	s_add_u32 s82, s82, s61                                    // 000000005850: 80523D52
	v_mul_lo_u32 v6, v5, s82                                   // 000000005854: D2850006 0000A505
	v_readlane_b32 s82, v3, 31                                 // 00000000585C: D2890052 00013F03
	s_lshr_b32 s61, s82, 24                                    // 000000005864: 8F3D9852
	s_and_b32 s82, s82, 0xffffff                               // 000000005868: 8652FF52 00FFFFFF
	s_mul_i32 s82, s82, s71                                    // 000000005870: 92524752
	s_mul_i32 s61, s60, s61                                    // 000000005874: 923D3D3C
	s_add_u32 s82, s82, s61                                    // 000000005878: 80523D52
	v_mul_lo_u32 v7, v4, s82                                   // 00000000587C: D2850007 0000A504
	v_add_u32_e32 v79, v6, v7                                  // 000000005884: 689E0F06
	v_readlane_b32 s82, v3, 32                                 // 000000005888: D2890052 00014103
	s_lshr_b32 s61, s82, 24                                    // 000000005890: 8F3D9852
	s_and_b32 s82, s82, 0xffffff                               // 000000005894: 8652FF52 00FFFFFF
	s_mul_i32 s82, s82, s71                                    // 00000000589C: 92524752
	s_mul_i32 s61, s60, s61                                    // 0000000058A0: 923D3D3C
	s_add_u32 s82, s82, s61                                    // 0000000058A4: 80523D52
	v_mul_lo_u32 v6, v5, s82                                   // 0000000058A8: D2850006 0000A505
	v_readlane_b32 s82, v3, 33                                 // 0000000058B0: D2890052 00014303
	s_lshr_b32 s61, s82, 24                                    // 0000000058B8: 8F3D9852
	s_and_b32 s82, s82, 0xffffff                               // 0000000058BC: 8652FF52 00FFFFFF
	s_mul_i32 s82, s82, s71                                    // 0000000058C4: 92524752
	s_mul_i32 s61, s60, s61                                    // 0000000058C8: 923D3D3C
	s_add_u32 s82, s82, s61                                    // 0000000058CC: 80523D52
	v_mul_lo_u32 v7, v4, s82                                   // 0000000058D0: D2850007 0000A504
	v_add_u32_e32 v80, v6, v7                                  // 0000000058D8: 68A00F06
	v_readlane_b32 s82, v3, 34                                 // 0000000058DC: D2890052 00014503
	s_lshr_b32 s61, s82, 24                                    // 0000000058E4: 8F3D9852
	s_and_b32 s82, s82, 0xffffff                               // 0000000058E8: 8652FF52 00FFFFFF
	s_mul_i32 s82, s82, s71                                    // 0000000058F0: 92524752
	s_mul_i32 s61, s60, s61                                    // 0000000058F4: 923D3D3C
	s_add_u32 s82, s82, s61                                    // 0000000058F8: 80523D52
	v_mul_lo_u32 v6, v5, s82                                   // 0000000058FC: D2850006 0000A505
	v_readlane_b32 s82, v3, 35                                 // 000000005904: D2890052 00014703
	s_lshr_b32 s61, s82, 24                                    // 00000000590C: 8F3D9852
	s_and_b32 s82, s82, 0xffffff                               // 000000005910: 8652FF52 00FFFFFF
	s_mul_i32 s82, s82, s71                                    // 000000005918: 92524752
	s_mul_i32 s61, s60, s61                                    // 00000000591C: 923D3D3C
	s_add_u32 s82, s82, s61                                    // 000000005920: 80523D52
	v_mul_lo_u32 v7, v4, s82                                   // 000000005924: D2850007 0000A504
	v_add_u32_e32 v81, v6, v7                                  // 00000000592C: 68A20F06
	v_and_b32_e32 v4, 31, v0                                   // 000000005930: 2608009F
	v_lshrrev_b32_e32 v4, 1, v4                                // 000000005934: 20080881
	s_cmp_eq_u32 s88, 0                                        // 000000005938: BF068058
	s_cselect_b32 s61, 2, 4                                    // 00000000593C: 853D8482
	v_mul_lo_u32 v4, v4, s61                                   // 000000005940: D2850004 00007B04
	v_and_b32_e64 v5, v0, 1                                    // 000000005948: D1130005 00010300
	v_add_u32_e32 v4, v4, v5                                   // 000000005950: 68080B04
	v_lshlrev_b32_e32 v4, 2, v4                                // 000000005954: 24080882
	v_add_u32_e32 v64, v64, v4                                 // 000000005958: 68800940
	v_add_u32_e32 v65, v65, v4                                 // 00000000595C: 68820941
	v_add_u32_e32 v66, v66, v4                                 // 000000005960: 68840942
	v_add_u32_e32 v67, v67, v4                                 // 000000005964: 68860943
	;; [unrolled: 1-line block ×3, first 2 shown]
	v_add_u32_e32 v69, v69, v4                                 // 00000000596C: 688A0945
	v_add_u32_e32 v70, v70, v4                                 // 000000005970: 688C0946
	v_add_u32_e32 v71, v71, v4                                 // 000000005974: 688E0947
	v_add_u32_e32 v72, v72, v4                                 // 000000005978: 68900948
	v_add_u32_e32 v73, v73, v4                                 // 00000000597C: 68920949
	v_add_u32_e32 v74, v74, v4                                 // 000000005980: 6894094A
	v_add_u32_e32 v75, v75, v4                                 // 000000005984: 6896094B
	v_add_u32_e32 v76, v76, v4                                 // 000000005988: 6898094C
	v_add_u32_e32 v77, v77, v4                                 // 00000000598C: 689A094D
	v_add_u32_e32 v78, v78, v4                                 // 000000005990: 689C094E
	v_add_u32_e32 v79, v79, v4                                 // 000000005994: 689E094F
	v_add_u32_e32 v80, v80, v4                                 // 000000005998: 68A00950
	v_add_u32_e32 v81, v81, v4                                 // 00000000599C: 68A20951
	s_waitcnt lgkmcnt(0)                                       // 0000000059A0: BF8CC07F
	s_barrier                                                  // 0000000059A4: BF8A0000
	ds_read_b32 v84, v21                                       // 0000000059A8: D86C0000 54000015
	ds_read_b32 v85, v21 offset:64                             // 0000000059B0: D86C0040 55000015
	ds_read_b32 v86, v21 offset:2176                           // 0000000059B8: D86C0880 56000015
	ds_read_b32 v87, v21 offset:2240                           // 0000000059C0: D86C08C0 57000015
	ds_read_b32 v88, v21 offset:4352                           // 0000000059C8: D86C1100 58000015
	ds_read_b32 v89, v21 offset:4416                           // 0000000059D0: D86C1140 59000015
	ds_read_b32 v90, v21 offset:6528                           // 0000000059D8: D86C1980 5A000015
	ds_read_b32 v91, v21 offset:6592                           // 0000000059E0: D86C19C0 5B000015
	ds_read_b32 v92, v21 offset:8704                           // 0000000059E8: D86C2200 5C000015
	ds_read_b32 v93, v21 offset:8768                           // 0000000059F0: D86C2240 5D000015
	ds_read_b32 v94, v21 offset:10880                          // 0000000059F8: D86C2A80 5E000015
	ds_read_b32 v95, v21 offset:10944                          // 000000005A00: D86C2AC0 5F000015
	ds_read_b32 v96, v21 offset:13056                          // 000000005A08: D86C3300 60000015
	ds_read_b32 v97, v21 offset:13120                          // 000000005A10: D86C3340 61000015
	ds_read_b32 v98, v21 offset:15232                          // 000000005A18: D86C3B80 62000015
	ds_read_b32 v99, v21 offset:15296                          // 000000005A20: D86C3BC0 63000015
	ds_read_b32 v100, v21 offset:17408                         // 000000005A28: D86C4400 64000015
	ds_read_b32 v101, v21 offset:17472                         // 000000005A30: D86C4440 65000015
	s_waitcnt lgkmcnt(0)                                       // 000000005A38: BF8CC07F
	s_mov_b32 s36, -1                                          // 000000005A3C: BEA400C1
	s_mov_b32 s37, -1                                          // 000000005A40: BEA500C1
	v_mov_b32_e32 v7, 0                                        // 000000005A44: 7E0E0280
	s_or_b32 s9, s9, 0x40000                                   // 000000005A48: 8709FF09 00040000
	s_mov_b64 exec, s[36:37]                                   // 000000005A50: BEFE0124
	v_mov_b32_e32 v6, v64                                      // 000000005A54: 7E0C0340
	s_mov_b64 s[60:61], 0                                      // 000000005A58: BEBC0180
	v_readlane_b32 s82, v3, 0                                  // 000000005A5C: D2890052 00010103
	s_and_b32 s82, s82, 0xffffff                               // 000000005A64: 8652FF52 00FFFFFF
	s_cmp_lt_u32 s82, s66                                      // 000000005A6C: BF0A4252
	s_cselect_b32 s20, s36, s60                                // 000000005A70: 85143C24
	v_readlane_b32 s82, v3, 1                                  // 000000005A74: D2890052 00010303
	s_and_b32 s82, s82, 0xffffff                               // 000000005A7C: 8652FF52 00FFFFFF
	s_cmp_lt_u32 s82, s66                                      // 000000005A84: BF0A4252
	s_cselect_b32 s21, s36, s60                                // 000000005A88: 85153C24
	s_mov_b64 exec, s[20:21]                                   // 000000005A8C: BEFE0114
	buffer_store_dword v84, v6, s[8:11], 0 offen               // 000000005A90: E0701000 80025406
	s_mov_b64 exec, s[36:37]                                   // 000000005A98: BEFE0124
	v_mov_b32_e32 v6, v65                                      // 000000005A9C: 7E0C0341
	s_mov_b64 s[60:61], 0                                      // 000000005AA0: BEBC0180
	v_readlane_b32 s82, v3, 2                                  // 000000005AA4: D2890052 00010503
	s_and_b32 s82, s82, 0xffffff                               // 000000005AAC: 8652FF52 00FFFFFF
	s_cmp_lt_u32 s82, s66                                      // 000000005AB4: BF0A4252
	s_cselect_b32 s20, s36, s60                                // 000000005AB8: 85143C24
	v_readlane_b32 s82, v3, 3                                  // 000000005ABC: D2890052 00010703
	s_and_b32 s82, s82, 0xffffff                               // 000000005AC4: 8652FF52 00FFFFFF
	s_cmp_lt_u32 s82, s66                                      // 000000005ACC: BF0A4252
	s_cselect_b32 s21, s36, s60                                // 000000005AD0: 85153C24
	s_mov_b64 exec, s[20:21]                                   // 000000005AD4: BEFE0114
	buffer_store_dword v85, v6, s[8:11], 0 offen               // 000000005AD8: E0701000 80025506
	s_mov_b64 exec, s[36:37]                                   // 000000005AE0: BEFE0124
	v_mov_b32_e32 v6, v66                                      // 000000005AE4: 7E0C0342
	s_mov_b64 s[60:61], 0                                      // 000000005AE8: BEBC0180
	v_readlane_b32 s82, v3, 4                                  // 000000005AEC: D2890052 00010903
	s_and_b32 s82, s82, 0xffffff                               // 000000005AF4: 8652FF52 00FFFFFF
	s_cmp_lt_u32 s82, s66                                      // 000000005AFC: BF0A4252
	s_cselect_b32 s20, s36, s60                                // 000000005B00: 85143C24
	v_readlane_b32 s82, v3, 5                                  // 000000005B04: D2890052 00010B03
	s_and_b32 s82, s82, 0xffffff                               // 000000005B0C: 8652FF52 00FFFFFF
	s_cmp_lt_u32 s82, s66                                      // 000000005B14: BF0A4252
	s_cselect_b32 s21, s36, s60                                // 000000005B18: 85153C24
	s_mov_b64 exec, s[20:21]                                   // 000000005B1C: BEFE0114
	buffer_store_dword v86, v6, s[8:11], 0 offen               // 000000005B20: E0701000 80025606
	s_mov_b64 exec, s[36:37]                                   // 000000005B28: BEFE0124
	v_mov_b32_e32 v6, v67                                      // 000000005B2C: 7E0C0343
	s_mov_b64 s[60:61], 0                                      // 000000005B30: BEBC0180
	v_readlane_b32 s82, v3, 6                                  // 000000005B34: D2890052 00010D03
	s_and_b32 s82, s82, 0xffffff                               // 000000005B3C: 8652FF52 00FFFFFF
	s_cmp_lt_u32 s82, s66                                      // 000000005B44: BF0A4252
	s_cselect_b32 s20, s36, s60                                // 000000005B48: 85143C24
	v_readlane_b32 s82, v3, 7                                  // 000000005B4C: D2890052 00010F03
	s_and_b32 s82, s82, 0xffffff                               // 000000005B54: 8652FF52 00FFFFFF
	s_cmp_lt_u32 s82, s66                                      // 000000005B5C: BF0A4252
	s_cselect_b32 s21, s36, s60                                // 000000005B60: 85153C24
	s_mov_b64 exec, s[20:21]                                   // 000000005B64: BEFE0114
	buffer_store_dword v87, v6, s[8:11], 0 offen               // 000000005B68: E0701000 80025706
	s_mov_b64 exec, s[36:37]                                   // 000000005B70: BEFE0124
	v_mov_b32_e32 v6, v68                                      // 000000005B74: 7E0C0344
	s_mov_b64 s[60:61], 0                                      // 000000005B78: BEBC0180
	v_readlane_b32 s82, v3, 8                                  // 000000005B7C: D2890052 00011103
	s_and_b32 s82, s82, 0xffffff                               // 000000005B84: 8652FF52 00FFFFFF
	s_cmp_lt_u32 s82, s66                                      // 000000005B8C: BF0A4252
	s_cselect_b32 s20, s36, s60                                // 000000005B90: 85143C24
	v_readlane_b32 s82, v3, 9                                  // 000000005B94: D2890052 00011303
	s_and_b32 s82, s82, 0xffffff                               // 000000005B9C: 8652FF52 00FFFFFF
	s_cmp_lt_u32 s82, s66                                      // 000000005BA4: BF0A4252
	s_cselect_b32 s21, s36, s60                                // 000000005BA8: 85153C24
	s_mov_b64 exec, s[20:21]                                   // 000000005BAC: BEFE0114
	buffer_store_dword v88, v6, s[8:11], 0 offen               // 000000005BB0: E0701000 80025806
	s_mov_b64 exec, s[36:37]                                   // 000000005BB8: BEFE0124
	v_mov_b32_e32 v6, v69                                      // 000000005BBC: 7E0C0345
	s_mov_b64 s[60:61], 0                                      // 000000005BC0: BEBC0180
	v_readlane_b32 s82, v3, 10                                 // 000000005BC4: D2890052 00011503
	s_and_b32 s82, s82, 0xffffff                               // 000000005BCC: 8652FF52 00FFFFFF
	s_cmp_lt_u32 s82, s66                                      // 000000005BD4: BF0A4252
	s_cselect_b32 s20, s36, s60                                // 000000005BD8: 85143C24
	v_readlane_b32 s82, v3, 11                                 // 000000005BDC: D2890052 00011703
	s_and_b32 s82, s82, 0xffffff                               // 000000005BE4: 8652FF52 00FFFFFF
	s_cmp_lt_u32 s82, s66                                      // 000000005BEC: BF0A4252
	s_cselect_b32 s21, s36, s60                                // 000000005BF0: 85153C24
	s_mov_b64 exec, s[20:21]                                   // 000000005BF4: BEFE0114
	buffer_store_dword v89, v6, s[8:11], 0 offen               // 000000005BF8: E0701000 80025906
	s_mov_b64 exec, s[36:37]                                   // 000000005C00: BEFE0124
	v_mov_b32_e32 v6, v70                                      // 000000005C04: 7E0C0346
	s_mov_b64 s[60:61], 0                                      // 000000005C08: BEBC0180
	v_readlane_b32 s82, v3, 12                                 // 000000005C0C: D2890052 00011903
	s_and_b32 s82, s82, 0xffffff                               // 000000005C14: 8652FF52 00FFFFFF
	s_cmp_lt_u32 s82, s66                                      // 000000005C1C: BF0A4252
	s_cselect_b32 s20, s36, s60                                // 000000005C20: 85143C24
	v_readlane_b32 s82, v3, 13                                 // 000000005C24: D2890052 00011B03
	s_and_b32 s82, s82, 0xffffff                               // 000000005C2C: 8652FF52 00FFFFFF
	s_cmp_lt_u32 s82, s66                                      // 000000005C34: BF0A4252
	s_cselect_b32 s21, s36, s60                                // 000000005C38: 85153C24
	s_mov_b64 exec, s[20:21]                                   // 000000005C3C: BEFE0114
	buffer_store_dword v90, v6, s[8:11], 0 offen               // 000000005C40: E0701000 80025A06
	s_mov_b64 exec, s[36:37]                                   // 000000005C48: BEFE0124
	v_mov_b32_e32 v6, v71                                      // 000000005C4C: 7E0C0347
	s_mov_b64 s[60:61], 0                                      // 000000005C50: BEBC0180
	v_readlane_b32 s82, v3, 14                                 // 000000005C54: D2890052 00011D03
	s_and_b32 s82, s82, 0xffffff                               // 000000005C5C: 8652FF52 00FFFFFF
	s_cmp_lt_u32 s82, s66                                      // 000000005C64: BF0A4252
	s_cselect_b32 s20, s36, s60                                // 000000005C68: 85143C24
	v_readlane_b32 s82, v3, 15                                 // 000000005C6C: D2890052 00011F03
	s_and_b32 s82, s82, 0xffffff                               // 000000005C74: 8652FF52 00FFFFFF
	s_cmp_lt_u32 s82, s66                                      // 000000005C7C: BF0A4252
	s_cselect_b32 s21, s36, s60                                // 000000005C80: 85153C24
	s_mov_b64 exec, s[20:21]                                   // 000000005C84: BEFE0114
	buffer_store_dword v91, v6, s[8:11], 0 offen               // 000000005C88: E0701000 80025B06
	s_mov_b64 exec, s[36:37]                                   // 000000005C90: BEFE0124
	v_mov_b32_e32 v6, v72                                      // 000000005C94: 7E0C0348
	s_mov_b64 s[60:61], 0                                      // 000000005C98: BEBC0180
	v_readlane_b32 s82, v3, 16                                 // 000000005C9C: D2890052 00012103
	s_and_b32 s82, s82, 0xffffff                               // 000000005CA4: 8652FF52 00FFFFFF
	s_cmp_lt_u32 s82, s66                                      // 000000005CAC: BF0A4252
	s_cselect_b32 s20, s36, s60                                // 000000005CB0: 85143C24
	v_readlane_b32 s82, v3, 17                                 // 000000005CB4: D2890052 00012303
	s_and_b32 s82, s82, 0xffffff                               // 000000005CBC: 8652FF52 00FFFFFF
	s_cmp_lt_u32 s82, s66                                      // 000000005CC4: BF0A4252
	s_cselect_b32 s21, s36, s60                                // 000000005CC8: 85153C24
	s_mov_b64 exec, s[20:21]                                   // 000000005CCC: BEFE0114
	buffer_store_dword v92, v6, s[8:11], 0 offen               // 000000005CD0: E0701000 80025C06
	s_mov_b64 exec, s[36:37]                                   // 000000005CD8: BEFE0124
	v_mov_b32_e32 v6, v73                                      // 000000005CDC: 7E0C0349
	s_mov_b64 s[60:61], 0                                      // 000000005CE0: BEBC0180
	v_readlane_b32 s82, v3, 18                                 // 000000005CE4: D2890052 00012503
	s_and_b32 s82, s82, 0xffffff                               // 000000005CEC: 8652FF52 00FFFFFF
	s_cmp_lt_u32 s82, s66                                      // 000000005CF4: BF0A4252
	s_cselect_b32 s20, s36, s60                                // 000000005CF8: 85143C24
	v_readlane_b32 s82, v3, 19                                 // 000000005CFC: D2890052 00012703
	s_and_b32 s82, s82, 0xffffff                               // 000000005D04: 8652FF52 00FFFFFF
	s_cmp_lt_u32 s82, s66                                      // 000000005D0C: BF0A4252
	s_cselect_b32 s21, s36, s60                                // 000000005D10: 85153C24
	s_mov_b64 exec, s[20:21]                                   // 000000005D14: BEFE0114
	buffer_store_dword v93, v6, s[8:11], 0 offen               // 000000005D18: E0701000 80025D06
	s_mov_b64 exec, s[36:37]                                   // 000000005D20: BEFE0124
	v_mov_b32_e32 v6, v74                                      // 000000005D24: 7E0C034A
	s_mov_b64 s[60:61], 0                                      // 000000005D28: BEBC0180
	v_readlane_b32 s82, v3, 20                                 // 000000005D2C: D2890052 00012903
	s_and_b32 s82, s82, 0xffffff                               // 000000005D34: 8652FF52 00FFFFFF
	s_cmp_lt_u32 s82, s66                                      // 000000005D3C: BF0A4252
	s_cselect_b32 s20, s36, s60                                // 000000005D40: 85143C24
	v_readlane_b32 s82, v3, 21                                 // 000000005D44: D2890052 00012B03
	s_and_b32 s82, s82, 0xffffff                               // 000000005D4C: 8652FF52 00FFFFFF
	s_cmp_lt_u32 s82, s66                                      // 000000005D54: BF0A4252
	s_cselect_b32 s21, s36, s60                                // 000000005D58: 85153C24
	s_mov_b64 exec, s[20:21]                                   // 000000005D5C: BEFE0114
	buffer_store_dword v94, v6, s[8:11], 0 offen               // 000000005D60: E0701000 80025E06
	s_mov_b64 exec, s[36:37]                                   // 000000005D68: BEFE0124
	v_mov_b32_e32 v6, v75                                      // 000000005D6C: 7E0C034B
	s_mov_b64 s[60:61], 0                                      // 000000005D70: BEBC0180
	v_readlane_b32 s82, v3, 22                                 // 000000005D74: D2890052 00012D03
	s_and_b32 s82, s82, 0xffffff                               // 000000005D7C: 8652FF52 00FFFFFF
	s_cmp_lt_u32 s82, s66                                      // 000000005D84: BF0A4252
	s_cselect_b32 s20, s36, s60                                // 000000005D88: 85143C24
	v_readlane_b32 s82, v3, 23                                 // 000000005D8C: D2890052 00012F03
	s_and_b32 s82, s82, 0xffffff                               // 000000005D94: 8652FF52 00FFFFFF
	s_cmp_lt_u32 s82, s66                                      // 000000005D9C: BF0A4252
	s_cselect_b32 s21, s36, s60                                // 000000005DA0: 85153C24
	s_mov_b64 exec, s[20:21]                                   // 000000005DA4: BEFE0114
	buffer_store_dword v95, v6, s[8:11], 0 offen               // 000000005DA8: E0701000 80025F06
	s_mov_b64 exec, s[36:37]                                   // 000000005DB0: BEFE0124
	v_mov_b32_e32 v6, v76                                      // 000000005DB4: 7E0C034C
	s_mov_b64 s[60:61], 0                                      // 000000005DB8: BEBC0180
	v_readlane_b32 s82, v3, 24                                 // 000000005DBC: D2890052 00013103
	s_and_b32 s82, s82, 0xffffff                               // 000000005DC4: 8652FF52 00FFFFFF
	s_cmp_lt_u32 s82, s66                                      // 000000005DCC: BF0A4252
	s_cselect_b32 s20, s36, s60                                // 000000005DD0: 85143C24
	v_readlane_b32 s82, v3, 25                                 // 000000005DD4: D2890052 00013303
	s_and_b32 s82, s82, 0xffffff                               // 000000005DDC: 8652FF52 00FFFFFF
	s_cmp_lt_u32 s82, s66                                      // 000000005DE4: BF0A4252
	s_cselect_b32 s21, s36, s60                                // 000000005DE8: 85153C24
	s_mov_b64 exec, s[20:21]                                   // 000000005DEC: BEFE0114
	buffer_store_dword v96, v6, s[8:11], 0 offen               // 000000005DF0: E0701000 80026006
	s_mov_b64 exec, s[36:37]                                   // 000000005DF8: BEFE0124
	v_mov_b32_e32 v6, v77                                      // 000000005DFC: 7E0C034D
	s_mov_b64 s[60:61], 0                                      // 000000005E00: BEBC0180
	v_readlane_b32 s82, v3, 26                                 // 000000005E04: D2890052 00013503
	s_and_b32 s82, s82, 0xffffff                               // 000000005E0C: 8652FF52 00FFFFFF
	s_cmp_lt_u32 s82, s66                                      // 000000005E14: BF0A4252
	s_cselect_b32 s20, s36, s60                                // 000000005E18: 85143C24
	v_readlane_b32 s82, v3, 27                                 // 000000005E1C: D2890052 00013703
	s_and_b32 s82, s82, 0xffffff                               // 000000005E24: 8652FF52 00FFFFFF
	s_cmp_lt_u32 s82, s66                                      // 000000005E2C: BF0A4252
	s_cselect_b32 s21, s36, s60                                // 000000005E30: 85153C24
	s_mov_b64 exec, s[20:21]                                   // 000000005E34: BEFE0114
	buffer_store_dword v97, v6, s[8:11], 0 offen               // 000000005E38: E0701000 80026106
	s_mov_b64 exec, s[36:37]                                   // 000000005E40: BEFE0124
	v_mov_b32_e32 v6, v78                                      // 000000005E44: 7E0C034E
	s_mov_b64 s[60:61], 0                                      // 000000005E48: BEBC0180
	v_readlane_b32 s82, v3, 28                                 // 000000005E4C: D2890052 00013903
	s_and_b32 s82, s82, 0xffffff                               // 000000005E54: 8652FF52 00FFFFFF
	s_cmp_lt_u32 s82, s66                                      // 000000005E5C: BF0A4252
	s_cselect_b32 s20, s36, s60                                // 000000005E60: 85143C24
	v_readlane_b32 s82, v3, 29                                 // 000000005E64: D2890052 00013B03
	s_and_b32 s82, s82, 0xffffff                               // 000000005E6C: 8652FF52 00FFFFFF
	s_cmp_lt_u32 s82, s66                                      // 000000005E74: BF0A4252
	s_cselect_b32 s21, s36, s60                                // 000000005E78: 85153C24
	s_mov_b64 exec, s[20:21]                                   // 000000005E7C: BEFE0114
	buffer_store_dword v98, v6, s[8:11], 0 offen               // 000000005E80: E0701000 80026206
	s_mov_b64 exec, s[36:37]                                   // 000000005E88: BEFE0124
	v_mov_b32_e32 v6, v79                                      // 000000005E8C: 7E0C034F
	s_mov_b64 s[60:61], 0                                      // 000000005E90: BEBC0180
	v_readlane_b32 s82, v3, 30                                 // 000000005E94: D2890052 00013D03
	s_and_b32 s82, s82, 0xffffff                               // 000000005E9C: 8652FF52 00FFFFFF
	s_cmp_lt_u32 s82, s66                                      // 000000005EA4: BF0A4252
	s_cselect_b32 s20, s36, s60                                // 000000005EA8: 85143C24
	v_readlane_b32 s82, v3, 31                                 // 000000005EAC: D2890052 00013F03
	s_and_b32 s82, s82, 0xffffff                               // 000000005EB4: 8652FF52 00FFFFFF
	s_cmp_lt_u32 s82, s66                                      // 000000005EBC: BF0A4252
	s_cselect_b32 s21, s36, s60                                // 000000005EC0: 85153C24
	s_mov_b64 exec, s[20:21]                                   // 000000005EC4: BEFE0114
	buffer_store_dword v99, v6, s[8:11], 0 offen               // 000000005EC8: E0701000 80026306
	s_mov_b64 exec, s[36:37]                                   // 000000005ED0: BEFE0124
	v_mov_b32_e32 v6, v80                                      // 000000005ED4: 7E0C0350
	s_mov_b64 s[60:61], 0                                      // 000000005ED8: BEBC0180
	v_readlane_b32 s82, v3, 32                                 // 000000005EDC: D2890052 00014103
	s_and_b32 s82, s82, 0xffffff                               // 000000005EE4: 8652FF52 00FFFFFF
	s_cmp_lt_u32 s82, s66                                      // 000000005EEC: BF0A4252
	s_cselect_b32 s20, s36, s60                                // 000000005EF0: 85143C24
	v_readlane_b32 s82, v3, 33                                 // 000000005EF4: D2890052 00014303
	s_and_b32 s82, s82, 0xffffff                               // 000000005EFC: 8652FF52 00FFFFFF
	s_cmp_lt_u32 s82, s66                                      // 000000005F04: BF0A4252
	s_cselect_b32 s21, s36, s60                                // 000000005F08: 85153C24
	s_mov_b64 exec, s[20:21]                                   // 000000005F0C: BEFE0114
	buffer_store_dword v100, v6, s[8:11], 0 offen              // 000000005F10: E0701000 80026406
	s_mov_b64 exec, s[36:37]                                   // 000000005F18: BEFE0124
	v_mov_b32_e32 v6, v81                                      // 000000005F1C: 7E0C0351
	s_mov_b64 s[60:61], 0                                      // 000000005F20: BEBC0180
	v_readlane_b32 s82, v3, 34                                 // 000000005F24: D2890052 00014503
	s_and_b32 s82, s82, 0xffffff                               // 000000005F2C: 8652FF52 00FFFFFF
	s_cmp_lt_u32 s82, s66                                      // 000000005F34: BF0A4252
	s_cselect_b32 s20, s36, s60                                // 000000005F38: 85143C24
	v_readlane_b32 s82, v3, 35                                 // 000000005F3C: D2890052 00014703
	s_and_b32 s82, s82, 0xffffff                               // 000000005F44: 8652FF52 00FFFFFF
	s_cmp_lt_u32 s82, s66                                      // 000000005F4C: BF0A4252
	s_cselect_b32 s21, s36, s60                                // 000000005F50: 85153C24
	s_mov_b64 exec, s[20:21]                                   // 000000005F54: BEFE0114
	buffer_store_dword v101, v6, s[8:11], 0 offen              // 000000005F58: E0701000 80026506
	s_mov_b64 exec, s[36:37]                                   // 000000005F60: BEFE0124
	s_branch label_2667                                        // 000000005F64: BF82190A

0000000000005f68 <label_0D5A>:
	ds_write_b64 v20, v[84:85]                                 // 000000005F68: D89A0000 00005414
	ds_write_b64 v20, v[88:89] offset:2176                     // 000000005F70: D89A0880 00005814
	ds_write_b64 v20, v[92:93] offset:4352                     // 000000005F78: D89A1100 00005C14
	ds_write_b64 v20, v[96:97] offset:6528                     // 000000005F80: D89A1980 00006014
	ds_write_b64 v20, v[100:101] offset:8704                   // 000000005F88: D89A2200 00006414
	ds_write_b64 v20, v[104:105] offset:10880                  // 000000005F90: D89A2A80 00006814
	ds_write_b64 v20, v[108:109] offset:13056                  // 000000005F98: D89A3300 00006C14
	ds_write_b64 v20, v[112:113] offset:15232                  // 000000005FA0: D89A3B80 00007014
	ds_write_b64 v20, v[116:117] offset:17408                  // 000000005FA8: D89A4400 00007414
	v_lshrrev_b32_e32 v4, 5, v0                                // 000000005FB0: 20080085
	v_xor_b32_e32 v5, 1, v4                                    // 000000005FB4: 2A0A0881
	s_mul_i32 s60, s65, 2                                      // 000000005FB8: 923C8241
	s_cmp_eq_u32 s88, 0                                        // 000000005FBC: BF068058
	s_cselect_b32 s61, 1, 4                                    // 000000005FC0: 853D8481
	s_mul_i32 s60, s61, s60                                    // 000000005FC4: 923C3C3D
	v_readlane_b32 s82, v3, 0                                  // 000000005FC8: D2890052 00010103
	s_lshr_b32 s61, s82, 24                                    // 000000005FD0: 8F3D9852
	s_and_b32 s82, s82, 0xffffff                               // 000000005FD4: 8652FF52 00FFFFFF
	s_mul_i32 s82, s82, s71                                    // 000000005FDC: 92524752
	s_mul_i32 s61, s60, s61                                    // 000000005FE0: 923D3D3C
	s_add_u32 s82, s82, s61                                    // 000000005FE4: 80523D52
	v_mul_lo_u32 v6, v5, s82                                   // 000000005FE8: D2850006 0000A505
	v_readlane_b32 s82, v3, 1                                  // 000000005FF0: D2890052 00010303
	s_lshr_b32 s61, s82, 24                                    // 000000005FF8: 8F3D9852
	s_and_b32 s82, s82, 0xffffff                               // 000000005FFC: 8652FF52 00FFFFFF
	s_mul_i32 s82, s82, s71                                    // 000000006004: 92524752
	s_mul_i32 s61, s60, s61                                    // 000000006008: 923D3D3C
	s_add_u32 s82, s82, s61                                    // 00000000600C: 80523D52
	v_mul_lo_u32 v7, v4, s82                                   // 000000006010: D2850007 0000A504
	v_add_u32_e32 v64, v6, v7                                  // 000000006018: 68800F06
	v_readlane_b32 s82, v3, 2                                  // 00000000601C: D2890052 00010503
	s_lshr_b32 s61, s82, 24                                    // 000000006024: 8F3D9852
	s_and_b32 s82, s82, 0xffffff                               // 000000006028: 8652FF52 00FFFFFF
	s_mul_i32 s82, s82, s71                                    // 000000006030: 92524752
	s_mul_i32 s61, s60, s61                                    // 000000006034: 923D3D3C
	s_add_u32 s82, s82, s61                                    // 000000006038: 80523D52
	v_mul_lo_u32 v6, v5, s82                                   // 00000000603C: D2850006 0000A505
	v_readlane_b32 s82, v3, 3                                  // 000000006044: D2890052 00010703
	s_lshr_b32 s61, s82, 24                                    // 00000000604C: 8F3D9852
	s_and_b32 s82, s82, 0xffffff                               // 000000006050: 8652FF52 00FFFFFF
	s_mul_i32 s82, s82, s71                                    // 000000006058: 92524752
	s_mul_i32 s61, s60, s61                                    // 00000000605C: 923D3D3C
	s_add_u32 s82, s82, s61                                    // 000000006060: 80523D52
	v_mul_lo_u32 v7, v4, s82                                   // 000000006064: D2850007 0000A504
	v_add_u32_e32 v65, v6, v7                                  // 00000000606C: 68820F06
	v_readlane_b32 s82, v3, 4                                  // 000000006070: D2890052 00010903
	s_lshr_b32 s61, s82, 24                                    // 000000006078: 8F3D9852
	s_and_b32 s82, s82, 0xffffff                               // 00000000607C: 8652FF52 00FFFFFF
	s_mul_i32 s82, s82, s71                                    // 000000006084: 92524752
	s_mul_i32 s61, s60, s61                                    // 000000006088: 923D3D3C
	s_add_u32 s82, s82, s61                                    // 00000000608C: 80523D52
	v_mul_lo_u32 v6, v5, s82                                   // 000000006090: D2850006 0000A505
	v_readlane_b32 s82, v3, 5                                  // 000000006098: D2890052 00010B03
	s_lshr_b32 s61, s82, 24                                    // 0000000060A0: 8F3D9852
	s_and_b32 s82, s82, 0xffffff                               // 0000000060A4: 8652FF52 00FFFFFF
	s_mul_i32 s82, s82, s71                                    // 0000000060AC: 92524752
	s_mul_i32 s61, s60, s61                                    // 0000000060B0: 923D3D3C
	s_add_u32 s82, s82, s61                                    // 0000000060B4: 80523D52
	v_mul_lo_u32 v7, v4, s82                                   // 0000000060B8: D2850007 0000A504
	v_add_u32_e32 v66, v6, v7                                  // 0000000060C0: 68840F06
	v_readlane_b32 s82, v3, 6                                  // 0000000060C4: D2890052 00010D03
	s_lshr_b32 s61, s82, 24                                    // 0000000060CC: 8F3D9852
	s_and_b32 s82, s82, 0xffffff                               // 0000000060D0: 8652FF52 00FFFFFF
	s_mul_i32 s82, s82, s71                                    // 0000000060D8: 92524752
	s_mul_i32 s61, s60, s61                                    // 0000000060DC: 923D3D3C
	s_add_u32 s82, s82, s61                                    // 0000000060E0: 80523D52
	v_mul_lo_u32 v6, v5, s82                                   // 0000000060E4: D2850006 0000A505
	v_readlane_b32 s82, v3, 7                                  // 0000000060EC: D2890052 00010F03
	s_lshr_b32 s61, s82, 24                                    // 0000000060F4: 8F3D9852
	s_and_b32 s82, s82, 0xffffff                               // 0000000060F8: 8652FF52 00FFFFFF
	s_mul_i32 s82, s82, s71                                    // 000000006100: 92524752
	s_mul_i32 s61, s60, s61                                    // 000000006104: 923D3D3C
	s_add_u32 s82, s82, s61                                    // 000000006108: 80523D52
	v_mul_lo_u32 v7, v4, s82                                   // 00000000610C: D2850007 0000A504
	v_add_u32_e32 v67, v6, v7                                  // 000000006114: 68860F06
	v_readlane_b32 s82, v3, 8                                  // 000000006118: D2890052 00011103
	s_lshr_b32 s61, s82, 24                                    // 000000006120: 8F3D9852
	s_and_b32 s82, s82, 0xffffff                               // 000000006124: 8652FF52 00FFFFFF
	s_mul_i32 s82, s82, s71                                    // 00000000612C: 92524752
	s_mul_i32 s61, s60, s61                                    // 000000006130: 923D3D3C
	s_add_u32 s82, s82, s61                                    // 000000006134: 80523D52
	v_mul_lo_u32 v6, v5, s82                                   // 000000006138: D2850006 0000A505
	v_readlane_b32 s82, v3, 9                                  // 000000006140: D2890052 00011303
	s_lshr_b32 s61, s82, 24                                    // 000000006148: 8F3D9852
	s_and_b32 s82, s82, 0xffffff                               // 00000000614C: 8652FF52 00FFFFFF
	s_mul_i32 s82, s82, s71                                    // 000000006154: 92524752
	s_mul_i32 s61, s60, s61                                    // 000000006158: 923D3D3C
	s_add_u32 s82, s82, s61                                    // 00000000615C: 80523D52
	v_mul_lo_u32 v7, v4, s82                                   // 000000006160: D2850007 0000A504
	v_add_u32_e32 v68, v6, v7                                  // 000000006168: 68880F06
	v_readlane_b32 s82, v3, 10                                 // 00000000616C: D2890052 00011503
	s_lshr_b32 s61, s82, 24                                    // 000000006174: 8F3D9852
	s_and_b32 s82, s82, 0xffffff                               // 000000006178: 8652FF52 00FFFFFF
	s_mul_i32 s82, s82, s71                                    // 000000006180: 92524752
	s_mul_i32 s61, s60, s61                                    // 000000006184: 923D3D3C
	s_add_u32 s82, s82, s61                                    // 000000006188: 80523D52
	v_mul_lo_u32 v6, v5, s82                                   // 00000000618C: D2850006 0000A505
	v_readlane_b32 s82, v3, 11                                 // 000000006194: D2890052 00011703
	s_lshr_b32 s61, s82, 24                                    // 00000000619C: 8F3D9852
	s_and_b32 s82, s82, 0xffffff                               // 0000000061A0: 8652FF52 00FFFFFF
	s_mul_i32 s82, s82, s71                                    // 0000000061A8: 92524752
	s_mul_i32 s61, s60, s61                                    // 0000000061AC: 923D3D3C
	s_add_u32 s82, s82, s61                                    // 0000000061B0: 80523D52
	v_mul_lo_u32 v7, v4, s82                                   // 0000000061B4: D2850007 0000A504
	v_add_u32_e32 v69, v6, v7                                  // 0000000061BC: 688A0F06
	v_readlane_b32 s82, v3, 12                                 // 0000000061C0: D2890052 00011903
	s_lshr_b32 s61, s82, 24                                    // 0000000061C8: 8F3D9852
	s_and_b32 s82, s82, 0xffffff                               // 0000000061CC: 8652FF52 00FFFFFF
	s_mul_i32 s82, s82, s71                                    // 0000000061D4: 92524752
	s_mul_i32 s61, s60, s61                                    // 0000000061D8: 923D3D3C
	s_add_u32 s82, s82, s61                                    // 0000000061DC: 80523D52
	v_mul_lo_u32 v6, v5, s82                                   // 0000000061E0: D2850006 0000A505
	v_readlane_b32 s82, v3, 13                                 // 0000000061E8: D2890052 00011B03
	s_lshr_b32 s61, s82, 24                                    // 0000000061F0: 8F3D9852
	s_and_b32 s82, s82, 0xffffff                               // 0000000061F4: 8652FF52 00FFFFFF
	s_mul_i32 s82, s82, s71                                    // 0000000061FC: 92524752
	s_mul_i32 s61, s60, s61                                    // 000000006200: 923D3D3C
	s_add_u32 s82, s82, s61                                    // 000000006204: 80523D52
	v_mul_lo_u32 v7, v4, s82                                   // 000000006208: D2850007 0000A504
	v_add_u32_e32 v70, v6, v7                                  // 000000006210: 688C0F06
	v_readlane_b32 s82, v3, 14                                 // 000000006214: D2890052 00011D03
	s_lshr_b32 s61, s82, 24                                    // 00000000621C: 8F3D9852
	s_and_b32 s82, s82, 0xffffff                               // 000000006220: 8652FF52 00FFFFFF
	s_mul_i32 s82, s82, s71                                    // 000000006228: 92524752
	s_mul_i32 s61, s60, s61                                    // 00000000622C: 923D3D3C
	s_add_u32 s82, s82, s61                                    // 000000006230: 80523D52
	v_mul_lo_u32 v6, v5, s82                                   // 000000006234: D2850006 0000A505
	v_readlane_b32 s82, v3, 15                                 // 00000000623C: D2890052 00011F03
	s_lshr_b32 s61, s82, 24                                    // 000000006244: 8F3D9852
	s_and_b32 s82, s82, 0xffffff                               // 000000006248: 8652FF52 00FFFFFF
	s_mul_i32 s82, s82, s71                                    // 000000006250: 92524752
	s_mul_i32 s61, s60, s61                                    // 000000006254: 923D3D3C
	s_add_u32 s82, s82, s61                                    // 000000006258: 80523D52
	v_mul_lo_u32 v7, v4, s82                                   // 00000000625C: D2850007 0000A504
	v_add_u32_e32 v71, v6, v7                                  // 000000006264: 688E0F06
	v_readlane_b32 s82, v3, 16                                 // 000000006268: D2890052 00012103
	s_lshr_b32 s61, s82, 24                                    // 000000006270: 8F3D9852
	s_and_b32 s82, s82, 0xffffff                               // 000000006274: 8652FF52 00FFFFFF
	s_mul_i32 s82, s82, s71                                    // 00000000627C: 92524752
	s_mul_i32 s61, s60, s61                                    // 000000006280: 923D3D3C
	s_add_u32 s82, s82, s61                                    // 000000006284: 80523D52
	v_mul_lo_u32 v6, v5, s82                                   // 000000006288: D2850006 0000A505
	v_readlane_b32 s82, v3, 17                                 // 000000006290: D2890052 00012303
	s_lshr_b32 s61, s82, 24                                    // 000000006298: 8F3D9852
	s_and_b32 s82, s82, 0xffffff                               // 00000000629C: 8652FF52 00FFFFFF
	s_mul_i32 s82, s82, s71                                    // 0000000062A4: 92524752
	s_mul_i32 s61, s60, s61                                    // 0000000062A8: 923D3D3C
	s_add_u32 s82, s82, s61                                    // 0000000062AC: 80523D52
	v_mul_lo_u32 v7, v4, s82                                   // 0000000062B0: D2850007 0000A504
	v_add_u32_e32 v72, v6, v7                                  // 0000000062B8: 68900F06
	v_readlane_b32 s82, v3, 18                                 // 0000000062BC: D2890052 00012503
	s_lshr_b32 s61, s82, 24                                    // 0000000062C4: 8F3D9852
	s_and_b32 s82, s82, 0xffffff                               // 0000000062C8: 8652FF52 00FFFFFF
	s_mul_i32 s82, s82, s71                                    // 0000000062D0: 92524752
	s_mul_i32 s61, s60, s61                                    // 0000000062D4: 923D3D3C
	s_add_u32 s82, s82, s61                                    // 0000000062D8: 80523D52
	v_mul_lo_u32 v6, v5, s82                                   // 0000000062DC: D2850006 0000A505
	v_readlane_b32 s82, v3, 19                                 // 0000000062E4: D2890052 00012703
	s_lshr_b32 s61, s82, 24                                    // 0000000062EC: 8F3D9852
	s_and_b32 s82, s82, 0xffffff                               // 0000000062F0: 8652FF52 00FFFFFF
	s_mul_i32 s82, s82, s71                                    // 0000000062F8: 92524752
	s_mul_i32 s61, s60, s61                                    // 0000000062FC: 923D3D3C
	s_add_u32 s82, s82, s61                                    // 000000006300: 80523D52
	v_mul_lo_u32 v7, v4, s82                                   // 000000006304: D2850007 0000A504
	v_add_u32_e32 v73, v6, v7                                  // 00000000630C: 68920F06
	v_readlane_b32 s82, v3, 20                                 // 000000006310: D2890052 00012903
	s_lshr_b32 s61, s82, 24                                    // 000000006318: 8F3D9852
	s_and_b32 s82, s82, 0xffffff                               // 00000000631C: 8652FF52 00FFFFFF
	s_mul_i32 s82, s82, s71                                    // 000000006324: 92524752
	s_mul_i32 s61, s60, s61                                    // 000000006328: 923D3D3C
	s_add_u32 s82, s82, s61                                    // 00000000632C: 80523D52
	v_mul_lo_u32 v6, v5, s82                                   // 000000006330: D2850006 0000A505
	v_readlane_b32 s82, v3, 21                                 // 000000006338: D2890052 00012B03
	s_lshr_b32 s61, s82, 24                                    // 000000006340: 8F3D9852
	s_and_b32 s82, s82, 0xffffff                               // 000000006344: 8652FF52 00FFFFFF
	s_mul_i32 s82, s82, s71                                    // 00000000634C: 92524752
	s_mul_i32 s61, s60, s61                                    // 000000006350: 923D3D3C
	s_add_u32 s82, s82, s61                                    // 000000006354: 80523D52
	v_mul_lo_u32 v7, v4, s82                                   // 000000006358: D2850007 0000A504
	v_add_u32_e32 v74, v6, v7                                  // 000000006360: 68940F06
	v_readlane_b32 s82, v3, 22                                 // 000000006364: D2890052 00012D03
	s_lshr_b32 s61, s82, 24                                    // 00000000636C: 8F3D9852
	s_and_b32 s82, s82, 0xffffff                               // 000000006370: 8652FF52 00FFFFFF
	s_mul_i32 s82, s82, s71                                    // 000000006378: 92524752
	s_mul_i32 s61, s60, s61                                    // 00000000637C: 923D3D3C
	s_add_u32 s82, s82, s61                                    // 000000006380: 80523D52
	v_mul_lo_u32 v6, v5, s82                                   // 000000006384: D2850006 0000A505
	v_readlane_b32 s82, v3, 23                                 // 00000000638C: D2890052 00012F03
	s_lshr_b32 s61, s82, 24                                    // 000000006394: 8F3D9852
	s_and_b32 s82, s82, 0xffffff                               // 000000006398: 8652FF52 00FFFFFF
	s_mul_i32 s82, s82, s71                                    // 0000000063A0: 92524752
	s_mul_i32 s61, s60, s61                                    // 0000000063A4: 923D3D3C
	s_add_u32 s82, s82, s61                                    // 0000000063A8: 80523D52
	v_mul_lo_u32 v7, v4, s82                                   // 0000000063AC: D2850007 0000A504
	v_add_u32_e32 v75, v6, v7                                  // 0000000063B4: 68960F06
	v_readlane_b32 s82, v3, 24                                 // 0000000063B8: D2890052 00013103
	s_lshr_b32 s61, s82, 24                                    // 0000000063C0: 8F3D9852
	s_and_b32 s82, s82, 0xffffff                               // 0000000063C4: 8652FF52 00FFFFFF
	s_mul_i32 s82, s82, s71                                    // 0000000063CC: 92524752
	s_mul_i32 s61, s60, s61                                    // 0000000063D0: 923D3D3C
	s_add_u32 s82, s82, s61                                    // 0000000063D4: 80523D52
	v_mul_lo_u32 v6, v5, s82                                   // 0000000063D8: D2850006 0000A505
	v_readlane_b32 s82, v3, 25                                 // 0000000063E0: D2890052 00013303
	s_lshr_b32 s61, s82, 24                                    // 0000000063E8: 8F3D9852
	s_and_b32 s82, s82, 0xffffff                               // 0000000063EC: 8652FF52 00FFFFFF
	s_mul_i32 s82, s82, s71                                    // 0000000063F4: 92524752
	s_mul_i32 s61, s60, s61                                    // 0000000063F8: 923D3D3C
	s_add_u32 s82, s82, s61                                    // 0000000063FC: 80523D52
	v_mul_lo_u32 v7, v4, s82                                   // 000000006400: D2850007 0000A504
	v_add_u32_e32 v76, v6, v7                                  // 000000006408: 68980F06
	v_readlane_b32 s82, v3, 26                                 // 00000000640C: D2890052 00013503
	s_lshr_b32 s61, s82, 24                                    // 000000006414: 8F3D9852
	s_and_b32 s82, s82, 0xffffff                               // 000000006418: 8652FF52 00FFFFFF
	s_mul_i32 s82, s82, s71                                    // 000000006420: 92524752
	s_mul_i32 s61, s60, s61                                    // 000000006424: 923D3D3C
	s_add_u32 s82, s82, s61                                    // 000000006428: 80523D52
	v_mul_lo_u32 v6, v5, s82                                   // 00000000642C: D2850006 0000A505
	v_readlane_b32 s82, v3, 27                                 // 000000006434: D2890052 00013703
	s_lshr_b32 s61, s82, 24                                    // 00000000643C: 8F3D9852
	s_and_b32 s82, s82, 0xffffff                               // 000000006440: 8652FF52 00FFFFFF
	s_mul_i32 s82, s82, s71                                    // 000000006448: 92524752
	s_mul_i32 s61, s60, s61                                    // 00000000644C: 923D3D3C
	s_add_u32 s82, s82, s61                                    // 000000006450: 80523D52
	v_mul_lo_u32 v7, v4, s82                                   // 000000006454: D2850007 0000A504
	v_add_u32_e32 v77, v6, v7                                  // 00000000645C: 689A0F06
	v_readlane_b32 s82, v3, 28                                 // 000000006460: D2890052 00013903
	s_lshr_b32 s61, s82, 24                                    // 000000006468: 8F3D9852
	s_and_b32 s82, s82, 0xffffff                               // 00000000646C: 8652FF52 00FFFFFF
	s_mul_i32 s82, s82, s71                                    // 000000006474: 92524752
	s_mul_i32 s61, s60, s61                                    // 000000006478: 923D3D3C
	s_add_u32 s82, s82, s61                                    // 00000000647C: 80523D52
	v_mul_lo_u32 v6, v5, s82                                   // 000000006480: D2850006 0000A505
	v_readlane_b32 s82, v3, 29                                 // 000000006488: D2890052 00013B03
	s_lshr_b32 s61, s82, 24                                    // 000000006490: 8F3D9852
	s_and_b32 s82, s82, 0xffffff                               // 000000006494: 8652FF52 00FFFFFF
	s_mul_i32 s82, s82, s71                                    // 00000000649C: 92524752
	s_mul_i32 s61, s60, s61                                    // 0000000064A0: 923D3D3C
	s_add_u32 s82, s82, s61                                    // 0000000064A4: 80523D52
	v_mul_lo_u32 v7, v4, s82                                   // 0000000064A8: D2850007 0000A504
	v_add_u32_e32 v78, v6, v7                                  // 0000000064B0: 689C0F06
	v_readlane_b32 s82, v3, 30                                 // 0000000064B4: D2890052 00013D03
	s_lshr_b32 s61, s82, 24                                    // 0000000064BC: 8F3D9852
	s_and_b32 s82, s82, 0xffffff                               // 0000000064C0: 8652FF52 00FFFFFF
	s_mul_i32 s82, s82, s71                                    // 0000000064C8: 92524752
	s_mul_i32 s61, s60, s61                                    // 0000000064CC: 923D3D3C
	s_add_u32 s82, s82, s61                                    // 0000000064D0: 80523D52
	v_mul_lo_u32 v6, v5, s82                                   // 0000000064D4: D2850006 0000A505
	v_readlane_b32 s82, v3, 31                                 // 0000000064DC: D2890052 00013F03
	s_lshr_b32 s61, s82, 24                                    // 0000000064E4: 8F3D9852
	s_and_b32 s82, s82, 0xffffff                               // 0000000064E8: 8652FF52 00FFFFFF
	s_mul_i32 s82, s82, s71                                    // 0000000064F0: 92524752
	s_mul_i32 s61, s60, s61                                    // 0000000064F4: 923D3D3C
	s_add_u32 s82, s82, s61                                    // 0000000064F8: 80523D52
	v_mul_lo_u32 v7, v4, s82                                   // 0000000064FC: D2850007 0000A504
	v_add_u32_e32 v79, v6, v7                                  // 000000006504: 689E0F06
	v_readlane_b32 s82, v3, 32                                 // 000000006508: D2890052 00014103
	s_lshr_b32 s61, s82, 24                                    // 000000006510: 8F3D9852
	s_and_b32 s82, s82, 0xffffff                               // 000000006514: 8652FF52 00FFFFFF
	s_mul_i32 s82, s82, s71                                    // 00000000651C: 92524752
	s_mul_i32 s61, s60, s61                                    // 000000006520: 923D3D3C
	s_add_u32 s82, s82, s61                                    // 000000006524: 80523D52
	v_mul_lo_u32 v6, v5, s82                                   // 000000006528: D2850006 0000A505
	v_readlane_b32 s82, v3, 33                                 // 000000006530: D2890052 00014303
	s_lshr_b32 s61, s82, 24                                    // 000000006538: 8F3D9852
	s_and_b32 s82, s82, 0xffffff                               // 00000000653C: 8652FF52 00FFFFFF
	s_mul_i32 s82, s82, s71                                    // 000000006544: 92524752
	s_mul_i32 s61, s60, s61                                    // 000000006548: 923D3D3C
	s_add_u32 s82, s82, s61                                    // 00000000654C: 80523D52
	v_mul_lo_u32 v7, v4, s82                                   // 000000006550: D2850007 0000A504
	v_add_u32_e32 v80, v6, v7                                  // 000000006558: 68A00F06
	v_readlane_b32 s82, v3, 34                                 // 00000000655C: D2890052 00014503
	s_lshr_b32 s61, s82, 24                                    // 000000006564: 8F3D9852
	s_and_b32 s82, s82, 0xffffff                               // 000000006568: 8652FF52 00FFFFFF
	s_mul_i32 s82, s82, s71                                    // 000000006570: 92524752
	s_mul_i32 s61, s60, s61                                    // 000000006574: 923D3D3C
	s_add_u32 s82, s82, s61                                    // 000000006578: 80523D52
	v_mul_lo_u32 v6, v5, s82                                   // 00000000657C: D2850006 0000A505
	v_readlane_b32 s82, v3, 35                                 // 000000006584: D2890052 00014703
	s_lshr_b32 s61, s82, 24                                    // 00000000658C: 8F3D9852
	s_and_b32 s82, s82, 0xffffff                               // 000000006590: 8652FF52 00FFFFFF
	s_mul_i32 s82, s82, s71                                    // 000000006598: 92524752
	s_mul_i32 s61, s60, s61                                    // 00000000659C: 923D3D3C
	s_add_u32 s82, s82, s61                                    // 0000000065A0: 80523D52
	v_mul_lo_u32 v7, v4, s82                                   // 0000000065A4: D2850007 0000A504
	v_add_u32_e32 v81, v6, v7                                  // 0000000065AC: 68A20F06
	v_and_b32_e32 v4, 31, v0                                   // 0000000065B0: 2608009F
	v_lshrrev_b32_e32 v4, 1, v4                                // 0000000065B4: 20080881
	s_cmp_eq_u32 s88, 0                                        // 0000000065B8: BF068058
	s_cselect_b32 s61, 2, 4                                    // 0000000065BC: 853D8482
	v_mul_lo_u32 v4, v4, s61                                   // 0000000065C0: D2850004 00007B04
	v_and_b32_e64 v5, v0, 1                                    // 0000000065C8: D1130005 00010300
	v_add_u32_e32 v4, v4, v5                                   // 0000000065D0: 68080B04
	v_lshlrev_b32_e32 v4, 2, v4                                // 0000000065D4: 24080882
	v_add_u32_e32 v64, v64, v4                                 // 0000000065D8: 68800940
	v_add_u32_e32 v65, v65, v4                                 // 0000000065DC: 68820941
	v_add_u32_e32 v66, v66, v4                                 // 0000000065E0: 68840942
	v_add_u32_e32 v67, v67, v4                                 // 0000000065E4: 68860943
	v_add_u32_e32 v68, v68, v4                                 // 0000000065E8: 68880944
	v_add_u32_e32 v69, v69, v4                                 // 0000000065EC: 688A0945
	v_add_u32_e32 v70, v70, v4                                 // 0000000065F0: 688C0946
	v_add_u32_e32 v71, v71, v4                                 // 0000000065F4: 688E0947
	v_add_u32_e32 v72, v72, v4                                 // 0000000065F8: 68900948
	v_add_u32_e32 v73, v73, v4                                 // 0000000065FC: 68920949
	v_add_u32_e32 v74, v74, v4                                 // 000000006600: 6894094A
	v_add_u32_e32 v75, v75, v4                                 // 000000006604: 6896094B
	v_add_u32_e32 v76, v76, v4                                 // 000000006608: 6898094C
	v_add_u32_e32 v77, v77, v4                                 // 00000000660C: 689A094D
	v_add_u32_e32 v78, v78, v4                                 // 000000006610: 689C094E
	v_add_u32_e32 v79, v79, v4                                 // 000000006614: 689E094F
	v_add_u32_e32 v80, v80, v4                                 // 000000006618: 68A00950
	v_add_u32_e32 v81, v81, v4                                 // 00000000661C: 68A20951
	s_waitcnt lgkmcnt(0)                                       // 000000006620: BF8CC07F
	s_barrier                                                  // 000000006624: BF8A0000
	ds_read_b32 v84, v21                                       // 000000006628: D86C0000 54000015
	ds_read_b32 v85, v21 offset:64                             // 000000006630: D86C0040 55000015
	ds_read_b32 v88, v21 offset:2176                           // 000000006638: D86C0880 58000015
	ds_read_b32 v89, v21 offset:2240                           // 000000006640: D86C08C0 59000015
	ds_read_b32 v92, v21 offset:4352                           // 000000006648: D86C1100 5C000015
	ds_read_b32 v93, v21 offset:4416                           // 000000006650: D86C1140 5D000015
	ds_read_b32 v96, v21 offset:6528                           // 000000006658: D86C1980 60000015
	ds_read_b32 v97, v21 offset:6592                           // 000000006660: D86C19C0 61000015
	ds_read_b32 v100, v21 offset:8704                          // 000000006668: D86C2200 64000015
	ds_read_b32 v101, v21 offset:8768                          // 000000006670: D86C2240 65000015
	ds_read_b32 v104, v21 offset:10880                         // 000000006678: D86C2A80 68000015
	ds_read_b32 v105, v21 offset:10944                         // 000000006680: D86C2AC0 69000015
	ds_read_b32 v108, v21 offset:13056                         // 000000006688: D86C3300 6C000015
	ds_read_b32 v109, v21 offset:13120                         // 000000006690: D86C3340 6D000015
	ds_read_b32 v112, v21 offset:15232                         // 000000006698: D86C3B80 70000015
	ds_read_b32 v113, v21 offset:15296                         // 0000000066A0: D86C3BC0 71000015
	ds_read_b32 v116, v21 offset:17408                         // 0000000066A8: D86C4400 74000015
	ds_read_b32 v117, v21 offset:17472                         // 0000000066B0: D86C4440 75000015
	s_waitcnt lgkmcnt(0)                                       // 0000000066B8: BF8CC07F
	s_mov_b32 s36, -1                                          // 0000000066BC: BEA400C1
	s_mov_b32 s37, -1                                          // 0000000066C0: BEA500C1
	v_mov_b32_e32 v7, 0                                        // 0000000066C4: 7E0E0280
	s_mov_b64 exec, s[36:37]                                   // 0000000066C8: BEFE0124
	v_mov_b32_e32 v6, v64                                      // 0000000066CC: 7E0C0340
	s_mov_b64 s[60:61], 0                                      // 0000000066D0: BEBC0180
	v_readlane_b32 s82, v3, 0                                  // 0000000066D4: D2890052 00010103
	s_and_b32 s82, s82, 0xffffff                               // 0000000066DC: 8652FF52 00FFFFFF
	s_cmp_lt_u32 s82, s66                                      // 0000000066E4: BF0A4252
	s_cselect_b32 s20, s36, s60                                // 0000000066E8: 85143C24
	v_readlane_b32 s82, v3, 1                                  // 0000000066EC: D2890052 00010303
	s_and_b32 s82, s82, 0xffffff                               // 0000000066F4: 8652FF52 00FFFFFF
	s_cmp_lt_u32 s82, s66                                      // 0000000066FC: BF0A4252
	s_cselect_b32 s21, s36, s60                                // 000000006700: 85153C24
	s_mov_b64 exec, s[20:21]                                   // 000000006704: BEFE0114
	global_atomic_add_f32 v6, v84, s[8:9]                      // 000000006708: DD348000 00085406
	s_mov_b64 exec, s[36:37]                                   // 000000006710: BEFE0124
	v_mov_b32_e32 v6, v65                                      // 000000006714: 7E0C0341
	s_mov_b64 s[60:61], 0                                      // 000000006718: BEBC0180
	v_readlane_b32 s82, v3, 2                                  // 00000000671C: D2890052 00010503
	s_and_b32 s82, s82, 0xffffff                               // 000000006724: 8652FF52 00FFFFFF
	s_cmp_lt_u32 s82, s66                                      // 00000000672C: BF0A4252
	s_cselect_b32 s20, s36, s60                                // 000000006730: 85143C24
	v_readlane_b32 s82, v3, 3                                  // 000000006734: D2890052 00010703
	s_and_b32 s82, s82, 0xffffff                               // 00000000673C: 8652FF52 00FFFFFF
	s_cmp_lt_u32 s82, s66                                      // 000000006744: BF0A4252
	s_cselect_b32 s21, s36, s60                                // 000000006748: 85153C24
	s_mov_b64 exec, s[20:21]                                   // 00000000674C: BEFE0114
	global_atomic_add_f32 v6, v85, s[8:9]                      // 000000006750: DD348000 00085506
	s_mov_b64 exec, s[36:37]                                   // 000000006758: BEFE0124
	v_mov_b32_e32 v6, v66                                      // 00000000675C: 7E0C0342
	s_mov_b64 s[60:61], 0                                      // 000000006760: BEBC0180
	v_readlane_b32 s82, v3, 4                                  // 000000006764: D2890052 00010903
	s_and_b32 s82, s82, 0xffffff                               // 00000000676C: 8652FF52 00FFFFFF
	s_cmp_lt_u32 s82, s66                                      // 000000006774: BF0A4252
	s_cselect_b32 s20, s36, s60                                // 000000006778: 85143C24
	v_readlane_b32 s82, v3, 5                                  // 00000000677C: D2890052 00010B03
	s_and_b32 s82, s82, 0xffffff                               // 000000006784: 8652FF52 00FFFFFF
	s_cmp_lt_u32 s82, s66                                      // 00000000678C: BF0A4252
	s_cselect_b32 s21, s36, s60                                // 000000006790: 85153C24
	s_mov_b64 exec, s[20:21]                                   // 000000006794: BEFE0114
	global_atomic_add_f32 v6, v88, s[8:9]                      // 000000006798: DD348000 00085806
	s_mov_b64 exec, s[36:37]                                   // 0000000067A0: BEFE0124
	v_mov_b32_e32 v6, v67                                      // 0000000067A4: 7E0C0343
	s_mov_b64 s[60:61], 0                                      // 0000000067A8: BEBC0180
	v_readlane_b32 s82, v3, 6                                  // 0000000067AC: D2890052 00010D03
	s_and_b32 s82, s82, 0xffffff                               // 0000000067B4: 8652FF52 00FFFFFF
	s_cmp_lt_u32 s82, s66                                      // 0000000067BC: BF0A4252
	s_cselect_b32 s20, s36, s60                                // 0000000067C0: 85143C24
	v_readlane_b32 s82, v3, 7                                  // 0000000067C4: D2890052 00010F03
	s_and_b32 s82, s82, 0xffffff                               // 0000000067CC: 8652FF52 00FFFFFF
	s_cmp_lt_u32 s82, s66                                      // 0000000067D4: BF0A4252
	s_cselect_b32 s21, s36, s60                                // 0000000067D8: 85153C24
	s_mov_b64 exec, s[20:21]                                   // 0000000067DC: BEFE0114
	global_atomic_add_f32 v6, v89, s[8:9]                      // 0000000067E0: DD348000 00085906
	s_mov_b64 exec, s[36:37]                                   // 0000000067E8: BEFE0124
	v_mov_b32_e32 v6, v68                                      // 0000000067EC: 7E0C0344
	s_mov_b64 s[60:61], 0                                      // 0000000067F0: BEBC0180
	v_readlane_b32 s82, v3, 8                                  // 0000000067F4: D2890052 00011103
	s_and_b32 s82, s82, 0xffffff                               // 0000000067FC: 8652FF52 00FFFFFF
	s_cmp_lt_u32 s82, s66                                      // 000000006804: BF0A4252
	s_cselect_b32 s20, s36, s60                                // 000000006808: 85143C24
	v_readlane_b32 s82, v3, 9                                  // 00000000680C: D2890052 00011303
	s_and_b32 s82, s82, 0xffffff                               // 000000006814: 8652FF52 00FFFFFF
	s_cmp_lt_u32 s82, s66                                      // 00000000681C: BF0A4252
	s_cselect_b32 s21, s36, s60                                // 000000006820: 85153C24
	s_mov_b64 exec, s[20:21]                                   // 000000006824: BEFE0114
	global_atomic_add_f32 v6, v92, s[8:9]                      // 000000006828: DD348000 00085C06
	s_mov_b64 exec, s[36:37]                                   // 000000006830: BEFE0124
	v_mov_b32_e32 v6, v69                                      // 000000006834: 7E0C0345
	s_mov_b64 s[60:61], 0                                      // 000000006838: BEBC0180
	v_readlane_b32 s82, v3, 10                                 // 00000000683C: D2890052 00011503
	s_and_b32 s82, s82, 0xffffff                               // 000000006844: 8652FF52 00FFFFFF
	s_cmp_lt_u32 s82, s66                                      // 00000000684C: BF0A4252
	s_cselect_b32 s20, s36, s60                                // 000000006850: 85143C24
	v_readlane_b32 s82, v3, 11                                 // 000000006854: D2890052 00011703
	s_and_b32 s82, s82, 0xffffff                               // 00000000685C: 8652FF52 00FFFFFF
	s_cmp_lt_u32 s82, s66                                      // 000000006864: BF0A4252
	s_cselect_b32 s21, s36, s60                                // 000000006868: 85153C24
	s_mov_b64 exec, s[20:21]                                   // 00000000686C: BEFE0114
	global_atomic_add_f32 v6, v93, s[8:9]                      // 000000006870: DD348000 00085D06
	s_mov_b64 exec, s[36:37]                                   // 000000006878: BEFE0124
	v_mov_b32_e32 v6, v70                                      // 00000000687C: 7E0C0346
	s_mov_b64 s[60:61], 0                                      // 000000006880: BEBC0180
	v_readlane_b32 s82, v3, 12                                 // 000000006884: D2890052 00011903
	s_and_b32 s82, s82, 0xffffff                               // 00000000688C: 8652FF52 00FFFFFF
	s_cmp_lt_u32 s82, s66                                      // 000000006894: BF0A4252
	s_cselect_b32 s20, s36, s60                                // 000000006898: 85143C24
	v_readlane_b32 s82, v3, 13                                 // 00000000689C: D2890052 00011B03
	s_and_b32 s82, s82, 0xffffff                               // 0000000068A4: 8652FF52 00FFFFFF
	s_cmp_lt_u32 s82, s66                                      // 0000000068AC: BF0A4252
	s_cselect_b32 s21, s36, s60                                // 0000000068B0: 85153C24
	s_mov_b64 exec, s[20:21]                                   // 0000000068B4: BEFE0114
	global_atomic_add_f32 v6, v96, s[8:9]                      // 0000000068B8: DD348000 00086006
	s_mov_b64 exec, s[36:37]                                   // 0000000068C0: BEFE0124
	v_mov_b32_e32 v6, v71                                      // 0000000068C4: 7E0C0347
	s_mov_b64 s[60:61], 0                                      // 0000000068C8: BEBC0180
	v_readlane_b32 s82, v3, 14                                 // 0000000068CC: D2890052 00011D03
	s_and_b32 s82, s82, 0xffffff                               // 0000000068D4: 8652FF52 00FFFFFF
	s_cmp_lt_u32 s82, s66                                      // 0000000068DC: BF0A4252
	s_cselect_b32 s20, s36, s60                                // 0000000068E0: 85143C24
	v_readlane_b32 s82, v3, 15                                 // 0000000068E4: D2890052 00011F03
	s_and_b32 s82, s82, 0xffffff                               // 0000000068EC: 8652FF52 00FFFFFF
	s_cmp_lt_u32 s82, s66                                      // 0000000068F4: BF0A4252
	s_cselect_b32 s21, s36, s60                                // 0000000068F8: 85153C24
	s_mov_b64 exec, s[20:21]                                   // 0000000068FC: BEFE0114
	global_atomic_add_f32 v6, v97, s[8:9]                      // 000000006900: DD348000 00086106
	s_mov_b64 exec, s[36:37]                                   // 000000006908: BEFE0124
	v_mov_b32_e32 v6, v72                                      // 00000000690C: 7E0C0348
	s_mov_b64 s[60:61], 0                                      // 000000006910: BEBC0180
	v_readlane_b32 s82, v3, 16                                 // 000000006914: D2890052 00012103
	s_and_b32 s82, s82, 0xffffff                               // 00000000691C: 8652FF52 00FFFFFF
	s_cmp_lt_u32 s82, s66                                      // 000000006924: BF0A4252
	s_cselect_b32 s20, s36, s60                                // 000000006928: 85143C24
	v_readlane_b32 s82, v3, 17                                 // 00000000692C: D2890052 00012303
	s_and_b32 s82, s82, 0xffffff                               // 000000006934: 8652FF52 00FFFFFF
	s_cmp_lt_u32 s82, s66                                      // 00000000693C: BF0A4252
	s_cselect_b32 s21, s36, s60                                // 000000006940: 85153C24
	s_mov_b64 exec, s[20:21]                                   // 000000006944: BEFE0114
	global_atomic_add_f32 v6, v100, s[8:9]                     // 000000006948: DD348000 00086406
	s_mov_b64 exec, s[36:37]                                   // 000000006950: BEFE0124
	v_mov_b32_e32 v6, v73                                      // 000000006954: 7E0C0349
	s_mov_b64 s[60:61], 0                                      // 000000006958: BEBC0180
	v_readlane_b32 s82, v3, 18                                 // 00000000695C: D2890052 00012503
	s_and_b32 s82, s82, 0xffffff                               // 000000006964: 8652FF52 00FFFFFF
	s_cmp_lt_u32 s82, s66                                      // 00000000696C: BF0A4252
	s_cselect_b32 s20, s36, s60                                // 000000006970: 85143C24
	v_readlane_b32 s82, v3, 19                                 // 000000006974: D2890052 00012703
	s_and_b32 s82, s82, 0xffffff                               // 00000000697C: 8652FF52 00FFFFFF
	s_cmp_lt_u32 s82, s66                                      // 000000006984: BF0A4252
	s_cselect_b32 s21, s36, s60                                // 000000006988: 85153C24
	s_mov_b64 exec, s[20:21]                                   // 00000000698C: BEFE0114
	global_atomic_add_f32 v6, v101, s[8:9]                     // 000000006990: DD348000 00086506
	s_mov_b64 exec, s[36:37]                                   // 000000006998: BEFE0124
	v_mov_b32_e32 v6, v74                                      // 00000000699C: 7E0C034A
	s_mov_b64 s[60:61], 0                                      // 0000000069A0: BEBC0180
	v_readlane_b32 s82, v3, 20                                 // 0000000069A4: D2890052 00012903
	s_and_b32 s82, s82, 0xffffff                               // 0000000069AC: 8652FF52 00FFFFFF
	s_cmp_lt_u32 s82, s66                                      // 0000000069B4: BF0A4252
	s_cselect_b32 s20, s36, s60                                // 0000000069B8: 85143C24
	v_readlane_b32 s82, v3, 21                                 // 0000000069BC: D2890052 00012B03
	s_and_b32 s82, s82, 0xffffff                               // 0000000069C4: 8652FF52 00FFFFFF
	s_cmp_lt_u32 s82, s66                                      // 0000000069CC: BF0A4252
	s_cselect_b32 s21, s36, s60                                // 0000000069D0: 85153C24
	s_mov_b64 exec, s[20:21]                                   // 0000000069D4: BEFE0114
	global_atomic_add_f32 v6, v104, s[8:9]                     // 0000000069D8: DD348000 00086806
	s_mov_b64 exec, s[36:37]                                   // 0000000069E0: BEFE0124
	v_mov_b32_e32 v6, v75                                      // 0000000069E4: 7E0C034B
	s_mov_b64 s[60:61], 0                                      // 0000000069E8: BEBC0180
	v_readlane_b32 s82, v3, 22                                 // 0000000069EC: D2890052 00012D03
	s_and_b32 s82, s82, 0xffffff                               // 0000000069F4: 8652FF52 00FFFFFF
	s_cmp_lt_u32 s82, s66                                      // 0000000069FC: BF0A4252
	s_cselect_b32 s20, s36, s60                                // 000000006A00: 85143C24
	v_readlane_b32 s82, v3, 23                                 // 000000006A04: D2890052 00012F03
	s_and_b32 s82, s82, 0xffffff                               // 000000006A0C: 8652FF52 00FFFFFF
	s_cmp_lt_u32 s82, s66                                      // 000000006A14: BF0A4252
	s_cselect_b32 s21, s36, s60                                // 000000006A18: 85153C24
	s_mov_b64 exec, s[20:21]                                   // 000000006A1C: BEFE0114
	global_atomic_add_f32 v6, v105, s[8:9]                     // 000000006A20: DD348000 00086906
	s_mov_b64 exec, s[36:37]                                   // 000000006A28: BEFE0124
	v_mov_b32_e32 v6, v76                                      // 000000006A2C: 7E0C034C
	s_mov_b64 s[60:61], 0                                      // 000000006A30: BEBC0180
	v_readlane_b32 s82, v3, 24                                 // 000000006A34: D2890052 00013103
	s_and_b32 s82, s82, 0xffffff                               // 000000006A3C: 8652FF52 00FFFFFF
	s_cmp_lt_u32 s82, s66                                      // 000000006A44: BF0A4252
	s_cselect_b32 s20, s36, s60                                // 000000006A48: 85143C24
	v_readlane_b32 s82, v3, 25                                 // 000000006A4C: D2890052 00013303
	s_and_b32 s82, s82, 0xffffff                               // 000000006A54: 8652FF52 00FFFFFF
	s_cmp_lt_u32 s82, s66                                      // 000000006A5C: BF0A4252
	s_cselect_b32 s21, s36, s60                                // 000000006A60: 85153C24
	s_mov_b64 exec, s[20:21]                                   // 000000006A64: BEFE0114
	global_atomic_add_f32 v6, v108, s[8:9]                     // 000000006A68: DD348000 00086C06
	s_mov_b64 exec, s[36:37]                                   // 000000006A70: BEFE0124
	v_mov_b32_e32 v6, v77                                      // 000000006A74: 7E0C034D
	s_mov_b64 s[60:61], 0                                      // 000000006A78: BEBC0180
	v_readlane_b32 s82, v3, 26                                 // 000000006A7C: D2890052 00013503
	s_and_b32 s82, s82, 0xffffff                               // 000000006A84: 8652FF52 00FFFFFF
	s_cmp_lt_u32 s82, s66                                      // 000000006A8C: BF0A4252
	s_cselect_b32 s20, s36, s60                                // 000000006A90: 85143C24
	v_readlane_b32 s82, v3, 27                                 // 000000006A94: D2890052 00013703
	s_and_b32 s82, s82, 0xffffff                               // 000000006A9C: 8652FF52 00FFFFFF
	s_cmp_lt_u32 s82, s66                                      // 000000006AA4: BF0A4252
	s_cselect_b32 s21, s36, s60                                // 000000006AA8: 85153C24
	s_mov_b64 exec, s[20:21]                                   // 000000006AAC: BEFE0114
	global_atomic_add_f32 v6, v109, s[8:9]                     // 000000006AB0: DD348000 00086D06
	s_mov_b64 exec, s[36:37]                                   // 000000006AB8: BEFE0124
	v_mov_b32_e32 v6, v78                                      // 000000006ABC: 7E0C034E
	s_mov_b64 s[60:61], 0                                      // 000000006AC0: BEBC0180
	v_readlane_b32 s82, v3, 28                                 // 000000006AC4: D2890052 00013903
	s_and_b32 s82, s82, 0xffffff                               // 000000006ACC: 8652FF52 00FFFFFF
	s_cmp_lt_u32 s82, s66                                      // 000000006AD4: BF0A4252
	s_cselect_b32 s20, s36, s60                                // 000000006AD8: 85143C24
	v_readlane_b32 s82, v3, 29                                 // 000000006ADC: D2890052 00013B03
	s_and_b32 s82, s82, 0xffffff                               // 000000006AE4: 8652FF52 00FFFFFF
	s_cmp_lt_u32 s82, s66                                      // 000000006AEC: BF0A4252
	s_cselect_b32 s21, s36, s60                                // 000000006AF0: 85153C24
	s_mov_b64 exec, s[20:21]                                   // 000000006AF4: BEFE0114
	global_atomic_add_f32 v6, v112, s[8:9]                     // 000000006AF8: DD348000 00087006
	s_mov_b64 exec, s[36:37]                                   // 000000006B00: BEFE0124
	v_mov_b32_e32 v6, v79                                      // 000000006B04: 7E0C034F
	s_mov_b64 s[60:61], 0                                      // 000000006B08: BEBC0180
	v_readlane_b32 s82, v3, 30                                 // 000000006B0C: D2890052 00013D03
	s_and_b32 s82, s82, 0xffffff                               // 000000006B14: 8652FF52 00FFFFFF
	s_cmp_lt_u32 s82, s66                                      // 000000006B1C: BF0A4252
	s_cselect_b32 s20, s36, s60                                // 000000006B20: 85143C24
	v_readlane_b32 s82, v3, 31                                 // 000000006B24: D2890052 00013F03
	s_and_b32 s82, s82, 0xffffff                               // 000000006B2C: 8652FF52 00FFFFFF
	s_cmp_lt_u32 s82, s66                                      // 000000006B34: BF0A4252
	s_cselect_b32 s21, s36, s60                                // 000000006B38: 85153C24
	s_mov_b64 exec, s[20:21]                                   // 000000006B3C: BEFE0114
	global_atomic_add_f32 v6, v113, s[8:9]                     // 000000006B40: DD348000 00087106
	s_mov_b64 exec, s[36:37]                                   // 000000006B48: BEFE0124
	v_mov_b32_e32 v6, v80                                      // 000000006B4C: 7E0C0350
	s_mov_b64 s[60:61], 0                                      // 000000006B50: BEBC0180
	v_readlane_b32 s82, v3, 32                                 // 000000006B54: D2890052 00014103
	s_and_b32 s82, s82, 0xffffff                               // 000000006B5C: 8652FF52 00FFFFFF
	s_cmp_lt_u32 s82, s66                                      // 000000006B64: BF0A4252
	s_cselect_b32 s20, s36, s60                                // 000000006B68: 85143C24
	v_readlane_b32 s82, v3, 33                                 // 000000006B6C: D2890052 00014303
	s_and_b32 s82, s82, 0xffffff                               // 000000006B74: 8652FF52 00FFFFFF
	s_cmp_lt_u32 s82, s66                                      // 000000006B7C: BF0A4252
	s_cselect_b32 s21, s36, s60                                // 000000006B80: 85153C24
	s_mov_b64 exec, s[20:21]                                   // 000000006B84: BEFE0114
	global_atomic_add_f32 v6, v116, s[8:9]                     // 000000006B88: DD348000 00087406
	s_mov_b64 exec, s[36:37]                                   // 000000006B90: BEFE0124
	v_mov_b32_e32 v6, v81                                      // 000000006B94: 7E0C0351
	s_mov_b64 s[60:61], 0                                      // 000000006B98: BEBC0180
	v_readlane_b32 s82, v3, 34                                 // 000000006B9C: D2890052 00014503
	s_and_b32 s82, s82, 0xffffff                               // 000000006BA4: 8652FF52 00FFFFFF
	s_cmp_lt_u32 s82, s66                                      // 000000006BAC: BF0A4252
	s_cselect_b32 s20, s36, s60                                // 000000006BB0: 85143C24
	v_readlane_b32 s82, v3, 35                                 // 000000006BB4: D2890052 00014703
	s_and_b32 s82, s82, 0xffffff                               // 000000006BBC: 8652FF52 00FFFFFF
	s_cmp_lt_u32 s82, s66                                      // 000000006BC4: BF0A4252
	s_cselect_b32 s21, s36, s60                                // 000000006BC8: 85153C24
	s_mov_b64 exec, s[20:21]                                   // 000000006BCC: BEFE0114
	global_atomic_add_f32 v6, v117, s[8:9]                     // 000000006BD0: DD348000 00087506
	s_mov_b64 exec, s[36:37]                                   // 000000006BD8: BEFE0124
	ds_write_b64 v20, v[86:87]                                 // 000000006BDC: D89A0000 00005614
	ds_write_b64 v20, v[90:91] offset:2176                     // 000000006BE4: D89A0880 00005A14
	ds_write_b64 v20, v[94:95] offset:4352                     // 000000006BEC: D89A1100 00005E14
	ds_write_b64 v20, v[98:99] offset:6528                     // 000000006BF4: D89A1980 00006214
	ds_write_b64 v20, v[102:103] offset:8704                   // 000000006BFC: D89A2200 00006614
	ds_write_b64 v20, v[106:107] offset:10880                  // 000000006C04: D89A2A80 00006A14
	ds_write_b64 v20, v[110:111] offset:13056                  // 000000006C0C: D89A3300 00006E14
	ds_write_b64 v20, v[114:115] offset:15232                  // 000000006C14: D89A3B80 00007214
	ds_write_b64 v20, v[118:119] offset:17408                  // 000000006C1C: D89A4400 00007614
	s_waitcnt lgkmcnt(0)                                       // 000000006C24: BF8CC07F
	s_barrier                                                  // 000000006C28: BF8A0000
	ds_read_b32 v86, v21                                       // 000000006C2C: D86C0000 56000015
	ds_read_b32 v87, v21 offset:64                             // 000000006C34: D86C0040 57000015
	ds_read_b32 v90, v21 offset:2176                           // 000000006C3C: D86C0880 5A000015
	ds_read_b32 v91, v21 offset:2240                           // 000000006C44: D86C08C0 5B000015
	ds_read_b32 v94, v21 offset:4352                           // 000000006C4C: D86C1100 5E000015
	ds_read_b32 v95, v21 offset:4416                           // 000000006C54: D86C1140 5F000015
	ds_read_b32 v98, v21 offset:6528                           // 000000006C5C: D86C1980 62000015
	ds_read_b32 v99, v21 offset:6592                           // 000000006C64: D86C19C0 63000015
	ds_read_b32 v102, v21 offset:8704                          // 000000006C6C: D86C2200 66000015
	ds_read_b32 v103, v21 offset:8768                          // 000000006C74: D86C2240 67000015
	ds_read_b32 v106, v21 offset:10880                         // 000000006C7C: D86C2A80 6A000015
	ds_read_b32 v107, v21 offset:10944                         // 000000006C84: D86C2AC0 6B000015
	ds_read_b32 v110, v21 offset:13056                         // 000000006C8C: D86C3300 6E000015
	ds_read_b32 v111, v21 offset:13120                         // 000000006C94: D86C3340 6F000015
	ds_read_b32 v114, v21 offset:15232                         // 000000006C9C: D86C3B80 72000015
	ds_read_b32 v115, v21 offset:15296                         // 000000006CA4: D86C3BC0 73000015
	ds_read_b32 v118, v21 offset:17408                         // 000000006CAC: D86C4400 76000015
	ds_read_b32 v119, v21 offset:17472                         // 000000006CB4: D86C4440 77000015
	s_waitcnt lgkmcnt(0)                                       // 000000006CBC: BF8CC07F
	v_mov_b32_e32 v7, 0                                        // 000000006CC0: 7E0E0280
	s_mov_b64 exec, s[36:37]                                   // 000000006CC4: BEFE0124
	v_mov_b32_e32 v6, v64                                      // 000000006CC8: 7E0C0340
	s_mov_b64 s[60:61], 0                                      // 000000006CCC: BEBC0180
	v_readlane_b32 s82, v3, 0                                  // 000000006CD0: D2890052 00010103
	s_and_b32 s82, s82, 0xffffff                               // 000000006CD8: 8652FF52 00FFFFFF
	s_cmp_lt_u32 s82, s66                                      // 000000006CE0: BF0A4252
	s_cselect_b32 s20, s36, s60                                // 000000006CE4: 85143C24
	v_readlane_b32 s82, v3, 1                                  // 000000006CE8: D2890052 00010303
	s_and_b32 s82, s82, 0xffffff                               // 000000006CF0: 8652FF52 00FFFFFF
	s_cmp_lt_u32 s82, s66                                      // 000000006CF8: BF0A4252
	s_cselect_b32 s21, s36, s60                                // 000000006CFC: 85153C24
	s_mov_b64 exec, s[20:21]                                   // 000000006D00: BEFE0114
	global_atomic_add_f32 v6, v86, s[8:9] offset:8             // 000000006D04: DD348008 00085606
	s_mov_b64 exec, s[36:37]                                   // 000000006D0C: BEFE0124
	v_mov_b32_e32 v6, v65                                      // 000000006D10: 7E0C0341
	s_mov_b64 s[60:61], 0                                      // 000000006D14: BEBC0180
	v_readlane_b32 s82, v3, 2                                  // 000000006D18: D2890052 00010503
	s_and_b32 s82, s82, 0xffffff                               // 000000006D20: 8652FF52 00FFFFFF
	s_cmp_lt_u32 s82, s66                                      // 000000006D28: BF0A4252
	s_cselect_b32 s20, s36, s60                                // 000000006D2C: 85143C24
	v_readlane_b32 s82, v3, 3                                  // 000000006D30: D2890052 00010703
	s_and_b32 s82, s82, 0xffffff                               // 000000006D38: 8652FF52 00FFFFFF
	s_cmp_lt_u32 s82, s66                                      // 000000006D40: BF0A4252
	s_cselect_b32 s21, s36, s60                                // 000000006D44: 85153C24
	s_mov_b64 exec, s[20:21]                                   // 000000006D48: BEFE0114
	global_atomic_add_f32 v6, v87, s[8:9] offset:8             // 000000006D4C: DD348008 00085706
	s_mov_b64 exec, s[36:37]                                   // 000000006D54: BEFE0124
	v_mov_b32_e32 v6, v66                                      // 000000006D58: 7E0C0342
	s_mov_b64 s[60:61], 0                                      // 000000006D5C: BEBC0180
	v_readlane_b32 s82, v3, 4                                  // 000000006D60: D2890052 00010903
	s_and_b32 s82, s82, 0xffffff                               // 000000006D68: 8652FF52 00FFFFFF
	s_cmp_lt_u32 s82, s66                                      // 000000006D70: BF0A4252
	s_cselect_b32 s20, s36, s60                                // 000000006D74: 85143C24
	v_readlane_b32 s82, v3, 5                                  // 000000006D78: D2890052 00010B03
	s_and_b32 s82, s82, 0xffffff                               // 000000006D80: 8652FF52 00FFFFFF
	s_cmp_lt_u32 s82, s66                                      // 000000006D88: BF0A4252
	s_cselect_b32 s21, s36, s60                                // 000000006D8C: 85153C24
	s_mov_b64 exec, s[20:21]                                   // 000000006D90: BEFE0114
	global_atomic_add_f32 v6, v90, s[8:9] offset:8             // 000000006D94: DD348008 00085A06
	s_mov_b64 exec, s[36:37]                                   // 000000006D9C: BEFE0124
	v_mov_b32_e32 v6, v67                                      // 000000006DA0: 7E0C0343
	s_mov_b64 s[60:61], 0                                      // 000000006DA4: BEBC0180
	v_readlane_b32 s82, v3, 6                                  // 000000006DA8: D2890052 00010D03
	s_and_b32 s82, s82, 0xffffff                               // 000000006DB0: 8652FF52 00FFFFFF
	s_cmp_lt_u32 s82, s66                                      // 000000006DB8: BF0A4252
	s_cselect_b32 s20, s36, s60                                // 000000006DBC: 85143C24
	v_readlane_b32 s82, v3, 7                                  // 000000006DC0: D2890052 00010F03
	s_and_b32 s82, s82, 0xffffff                               // 000000006DC8: 8652FF52 00FFFFFF
	s_cmp_lt_u32 s82, s66                                      // 000000006DD0: BF0A4252
	s_cselect_b32 s21, s36, s60                                // 000000006DD4: 85153C24
	s_mov_b64 exec, s[20:21]                                   // 000000006DD8: BEFE0114
	global_atomic_add_f32 v6, v91, s[8:9] offset:8             // 000000006DDC: DD348008 00085B06
	s_mov_b64 exec, s[36:37]                                   // 000000006DE4: BEFE0124
	v_mov_b32_e32 v6, v68                                      // 000000006DE8: 7E0C0344
	s_mov_b64 s[60:61], 0                                      // 000000006DEC: BEBC0180
	v_readlane_b32 s82, v3, 8                                  // 000000006DF0: D2890052 00011103
	s_and_b32 s82, s82, 0xffffff                               // 000000006DF8: 8652FF52 00FFFFFF
	s_cmp_lt_u32 s82, s66                                      // 000000006E00: BF0A4252
	s_cselect_b32 s20, s36, s60                                // 000000006E04: 85143C24
	v_readlane_b32 s82, v3, 9                                  // 000000006E08: D2890052 00011303
	s_and_b32 s82, s82, 0xffffff                               // 000000006E10: 8652FF52 00FFFFFF
	s_cmp_lt_u32 s82, s66                                      // 000000006E18: BF0A4252
	s_cselect_b32 s21, s36, s60                                // 000000006E1C: 85153C24
	s_mov_b64 exec, s[20:21]                                   // 000000006E20: BEFE0114
	global_atomic_add_f32 v6, v94, s[8:9] offset:8             // 000000006E24: DD348008 00085E06
	s_mov_b64 exec, s[36:37]                                   // 000000006E2C: BEFE0124
	v_mov_b32_e32 v6, v69                                      // 000000006E30: 7E0C0345
	s_mov_b64 s[60:61], 0                                      // 000000006E34: BEBC0180
	v_readlane_b32 s82, v3, 10                                 // 000000006E38: D2890052 00011503
	s_and_b32 s82, s82, 0xffffff                               // 000000006E40: 8652FF52 00FFFFFF
	s_cmp_lt_u32 s82, s66                                      // 000000006E48: BF0A4252
	s_cselect_b32 s20, s36, s60                                // 000000006E4C: 85143C24
	v_readlane_b32 s82, v3, 11                                 // 000000006E50: D2890052 00011703
	s_and_b32 s82, s82, 0xffffff                               // 000000006E58: 8652FF52 00FFFFFF
	s_cmp_lt_u32 s82, s66                                      // 000000006E60: BF0A4252
	s_cselect_b32 s21, s36, s60                                // 000000006E64: 85153C24
	s_mov_b64 exec, s[20:21]                                   // 000000006E68: BEFE0114
	global_atomic_add_f32 v6, v95, s[8:9] offset:8             // 000000006E6C: DD348008 00085F06
	s_mov_b64 exec, s[36:37]                                   // 000000006E74: BEFE0124
	v_mov_b32_e32 v6, v70                                      // 000000006E78: 7E0C0346
	s_mov_b64 s[60:61], 0                                      // 000000006E7C: BEBC0180
	v_readlane_b32 s82, v3, 12                                 // 000000006E80: D2890052 00011903
	s_and_b32 s82, s82, 0xffffff                               // 000000006E88: 8652FF52 00FFFFFF
	s_cmp_lt_u32 s82, s66                                      // 000000006E90: BF0A4252
	s_cselect_b32 s20, s36, s60                                // 000000006E94: 85143C24
	v_readlane_b32 s82, v3, 13                                 // 000000006E98: D2890052 00011B03
	s_and_b32 s82, s82, 0xffffff                               // 000000006EA0: 8652FF52 00FFFFFF
	s_cmp_lt_u32 s82, s66                                      // 000000006EA8: BF0A4252
	s_cselect_b32 s21, s36, s60                                // 000000006EAC: 85153C24
	s_mov_b64 exec, s[20:21]                                   // 000000006EB0: BEFE0114
	global_atomic_add_f32 v6, v98, s[8:9] offset:8             // 000000006EB4: DD348008 00086206
	s_mov_b64 exec, s[36:37]                                   // 000000006EBC: BEFE0124
	v_mov_b32_e32 v6, v71                                      // 000000006EC0: 7E0C0347
	s_mov_b64 s[60:61], 0                                      // 000000006EC4: BEBC0180
	v_readlane_b32 s82, v3, 14                                 // 000000006EC8: D2890052 00011D03
	s_and_b32 s82, s82, 0xffffff                               // 000000006ED0: 8652FF52 00FFFFFF
	s_cmp_lt_u32 s82, s66                                      // 000000006ED8: BF0A4252
	s_cselect_b32 s20, s36, s60                                // 000000006EDC: 85143C24
	v_readlane_b32 s82, v3, 15                                 // 000000006EE0: D2890052 00011F03
	s_and_b32 s82, s82, 0xffffff                               // 000000006EE8: 8652FF52 00FFFFFF
	s_cmp_lt_u32 s82, s66                                      // 000000006EF0: BF0A4252
	s_cselect_b32 s21, s36, s60                                // 000000006EF4: 85153C24
	s_mov_b64 exec, s[20:21]                                   // 000000006EF8: BEFE0114
	global_atomic_add_f32 v6, v99, s[8:9] offset:8             // 000000006EFC: DD348008 00086306
	s_mov_b64 exec, s[36:37]                                   // 000000006F04: BEFE0124
	v_mov_b32_e32 v6, v72                                      // 000000006F08: 7E0C0348
	s_mov_b64 s[60:61], 0                                      // 000000006F0C: BEBC0180
	v_readlane_b32 s82, v3, 16                                 // 000000006F10: D2890052 00012103
	s_and_b32 s82, s82, 0xffffff                               // 000000006F18: 8652FF52 00FFFFFF
	s_cmp_lt_u32 s82, s66                                      // 000000006F20: BF0A4252
	s_cselect_b32 s20, s36, s60                                // 000000006F24: 85143C24
	v_readlane_b32 s82, v3, 17                                 // 000000006F28: D2890052 00012303
	s_and_b32 s82, s82, 0xffffff                               // 000000006F30: 8652FF52 00FFFFFF
	s_cmp_lt_u32 s82, s66                                      // 000000006F38: BF0A4252
	s_cselect_b32 s21, s36, s60                                // 000000006F3C: 85153C24
	s_mov_b64 exec, s[20:21]                                   // 000000006F40: BEFE0114
	global_atomic_add_f32 v6, v102, s[8:9] offset:8            // 000000006F44: DD348008 00086606
	s_mov_b64 exec, s[36:37]                                   // 000000006F4C: BEFE0124
	v_mov_b32_e32 v6, v73                                      // 000000006F50: 7E0C0349
	s_mov_b64 s[60:61], 0                                      // 000000006F54: BEBC0180
	v_readlane_b32 s82, v3, 18                                 // 000000006F58: D2890052 00012503
	s_and_b32 s82, s82, 0xffffff                               // 000000006F60: 8652FF52 00FFFFFF
	s_cmp_lt_u32 s82, s66                                      // 000000006F68: BF0A4252
	s_cselect_b32 s20, s36, s60                                // 000000006F6C: 85143C24
	v_readlane_b32 s82, v3, 19                                 // 000000006F70: D2890052 00012703
	s_and_b32 s82, s82, 0xffffff                               // 000000006F78: 8652FF52 00FFFFFF
	s_cmp_lt_u32 s82, s66                                      // 000000006F80: BF0A4252
	s_cselect_b32 s21, s36, s60                                // 000000006F84: 85153C24
	s_mov_b64 exec, s[20:21]                                   // 000000006F88: BEFE0114
	global_atomic_add_f32 v6, v103, s[8:9] offset:8            // 000000006F8C: DD348008 00086706
	s_mov_b64 exec, s[36:37]                                   // 000000006F94: BEFE0124
	v_mov_b32_e32 v6, v74                                      // 000000006F98: 7E0C034A
	s_mov_b64 s[60:61], 0                                      // 000000006F9C: BEBC0180
	v_readlane_b32 s82, v3, 20                                 // 000000006FA0: D2890052 00012903
	s_and_b32 s82, s82, 0xffffff                               // 000000006FA8: 8652FF52 00FFFFFF
	s_cmp_lt_u32 s82, s66                                      // 000000006FB0: BF0A4252
	s_cselect_b32 s20, s36, s60                                // 000000006FB4: 85143C24
	v_readlane_b32 s82, v3, 21                                 // 000000006FB8: D2890052 00012B03
	s_and_b32 s82, s82, 0xffffff                               // 000000006FC0: 8652FF52 00FFFFFF
	s_cmp_lt_u32 s82, s66                                      // 000000006FC8: BF0A4252
	s_cselect_b32 s21, s36, s60                                // 000000006FCC: 85153C24
	s_mov_b64 exec, s[20:21]                                   // 000000006FD0: BEFE0114
	global_atomic_add_f32 v6, v106, s[8:9] offset:8            // 000000006FD4: DD348008 00086A06
	s_mov_b64 exec, s[36:37]                                   // 000000006FDC: BEFE0124
	v_mov_b32_e32 v6, v75                                      // 000000006FE0: 7E0C034B
	s_mov_b64 s[60:61], 0                                      // 000000006FE4: BEBC0180
	v_readlane_b32 s82, v3, 22                                 // 000000006FE8: D2890052 00012D03
	s_and_b32 s82, s82, 0xffffff                               // 000000006FF0: 8652FF52 00FFFFFF
	s_cmp_lt_u32 s82, s66                                      // 000000006FF8: BF0A4252
	s_cselect_b32 s20, s36, s60                                // 000000006FFC: 85143C24
	v_readlane_b32 s82, v3, 23                                 // 000000007000: D2890052 00012F03
	s_and_b32 s82, s82, 0xffffff                               // 000000007008: 8652FF52 00FFFFFF
	s_cmp_lt_u32 s82, s66                                      // 000000007010: BF0A4252
	s_cselect_b32 s21, s36, s60                                // 000000007014: 85153C24
	s_mov_b64 exec, s[20:21]                                   // 000000007018: BEFE0114
	global_atomic_add_f32 v6, v107, s[8:9] offset:8            // 00000000701C: DD348008 00086B06
	s_mov_b64 exec, s[36:37]                                   // 000000007024: BEFE0124
	v_mov_b32_e32 v6, v76                                      // 000000007028: 7E0C034C
	s_mov_b64 s[60:61], 0                                      // 00000000702C: BEBC0180
	v_readlane_b32 s82, v3, 24                                 // 000000007030: D2890052 00013103
	s_and_b32 s82, s82, 0xffffff                               // 000000007038: 8652FF52 00FFFFFF
	s_cmp_lt_u32 s82, s66                                      // 000000007040: BF0A4252
	s_cselect_b32 s20, s36, s60                                // 000000007044: 85143C24
	v_readlane_b32 s82, v3, 25                                 // 000000007048: D2890052 00013303
	s_and_b32 s82, s82, 0xffffff                               // 000000007050: 8652FF52 00FFFFFF
	s_cmp_lt_u32 s82, s66                                      // 000000007058: BF0A4252
	s_cselect_b32 s21, s36, s60                                // 00000000705C: 85153C24
	s_mov_b64 exec, s[20:21]                                   // 000000007060: BEFE0114
	global_atomic_add_f32 v6, v110, s[8:9] offset:8            // 000000007064: DD348008 00086E06
	s_mov_b64 exec, s[36:37]                                   // 00000000706C: BEFE0124
	v_mov_b32_e32 v6, v77                                      // 000000007070: 7E0C034D
	s_mov_b64 s[60:61], 0                                      // 000000007074: BEBC0180
	v_readlane_b32 s82, v3, 26                                 // 000000007078: D2890052 00013503
	s_and_b32 s82, s82, 0xffffff                               // 000000007080: 8652FF52 00FFFFFF
	s_cmp_lt_u32 s82, s66                                      // 000000007088: BF0A4252
	s_cselect_b32 s20, s36, s60                                // 00000000708C: 85143C24
	v_readlane_b32 s82, v3, 27                                 // 000000007090: D2890052 00013703
	s_and_b32 s82, s82, 0xffffff                               // 000000007098: 8652FF52 00FFFFFF
	s_cmp_lt_u32 s82, s66                                      // 0000000070A0: BF0A4252
	s_cselect_b32 s21, s36, s60                                // 0000000070A4: 85153C24
	s_mov_b64 exec, s[20:21]                                   // 0000000070A8: BEFE0114
	global_atomic_add_f32 v6, v111, s[8:9] offset:8            // 0000000070AC: DD348008 00086F06
	s_mov_b64 exec, s[36:37]                                   // 0000000070B4: BEFE0124
	v_mov_b32_e32 v6, v78                                      // 0000000070B8: 7E0C034E
	s_mov_b64 s[60:61], 0                                      // 0000000070BC: BEBC0180
	v_readlane_b32 s82, v3, 28                                 // 0000000070C0: D2890052 00013903
	s_and_b32 s82, s82, 0xffffff                               // 0000000070C8: 8652FF52 00FFFFFF
	s_cmp_lt_u32 s82, s66                                      // 0000000070D0: BF0A4252
	s_cselect_b32 s20, s36, s60                                // 0000000070D4: 85143C24
	v_readlane_b32 s82, v3, 29                                 // 0000000070D8: D2890052 00013B03
	s_and_b32 s82, s82, 0xffffff                               // 0000000070E0: 8652FF52 00FFFFFF
	s_cmp_lt_u32 s82, s66                                      // 0000000070E8: BF0A4252
	s_cselect_b32 s21, s36, s60                                // 0000000070EC: 85153C24
	s_mov_b64 exec, s[20:21]                                   // 0000000070F0: BEFE0114
	global_atomic_add_f32 v6, v114, s[8:9] offset:8            // 0000000070F4: DD348008 00087206
	s_mov_b64 exec, s[36:37]                                   // 0000000070FC: BEFE0124
	v_mov_b32_e32 v6, v79                                      // 000000007100: 7E0C034F
	s_mov_b64 s[60:61], 0                                      // 000000007104: BEBC0180
	v_readlane_b32 s82, v3, 30                                 // 000000007108: D2890052 00013D03
	s_and_b32 s82, s82, 0xffffff                               // 000000007110: 8652FF52 00FFFFFF
	s_cmp_lt_u32 s82, s66                                      // 000000007118: BF0A4252
	s_cselect_b32 s20, s36, s60                                // 00000000711C: 85143C24
	v_readlane_b32 s82, v3, 31                                 // 000000007120: D2890052 00013F03
	s_and_b32 s82, s82, 0xffffff                               // 000000007128: 8652FF52 00FFFFFF
	s_cmp_lt_u32 s82, s66                                      // 000000007130: BF0A4252
	s_cselect_b32 s21, s36, s60                                // 000000007134: 85153C24
	s_mov_b64 exec, s[20:21]                                   // 000000007138: BEFE0114
	global_atomic_add_f32 v6, v115, s[8:9] offset:8            // 00000000713C: DD348008 00087306
	s_mov_b64 exec, s[36:37]                                   // 000000007144: BEFE0124
	v_mov_b32_e32 v6, v80                                      // 000000007148: 7E0C0350
	s_mov_b64 s[60:61], 0                                      // 00000000714C: BEBC0180
	v_readlane_b32 s82, v3, 32                                 // 000000007150: D2890052 00014103
	s_and_b32 s82, s82, 0xffffff                               // 000000007158: 8652FF52 00FFFFFF
	s_cmp_lt_u32 s82, s66                                      // 000000007160: BF0A4252
	s_cselect_b32 s20, s36, s60                                // 000000007164: 85143C24
	v_readlane_b32 s82, v3, 33                                 // 000000007168: D2890052 00014303
	s_and_b32 s82, s82, 0xffffff                               // 000000007170: 8652FF52 00FFFFFF
	s_cmp_lt_u32 s82, s66                                      // 000000007178: BF0A4252
	s_cselect_b32 s21, s36, s60                                // 00000000717C: 85153C24
	s_mov_b64 exec, s[20:21]                                   // 000000007180: BEFE0114
	global_atomic_add_f32 v6, v118, s[8:9] offset:8            // 000000007184: DD348008 00087606
	s_mov_b64 exec, s[36:37]                                   // 00000000718C: BEFE0124
	v_mov_b32_e32 v6, v81                                      // 000000007190: 7E0C0351
	s_mov_b64 s[60:61], 0                                      // 000000007194: BEBC0180
	v_readlane_b32 s82, v3, 34                                 // 000000007198: D2890052 00014503
	s_and_b32 s82, s82, 0xffffff                               // 0000000071A0: 8652FF52 00FFFFFF
	s_cmp_lt_u32 s82, s66                                      // 0000000071A8: BF0A4252
	s_cselect_b32 s20, s36, s60                                // 0000000071AC: 85143C24
	v_readlane_b32 s82, v3, 35                                 // 0000000071B0: D2890052 00014703
	s_and_b32 s82, s82, 0xffffff                               // 0000000071B8: 8652FF52 00FFFFFF
	s_cmp_lt_u32 s82, s66                                      // 0000000071C0: BF0A4252
	s_cselect_b32 s21, s36, s60                                // 0000000071C4: 85153C24
	s_mov_b64 exec, s[20:21]                                   // 0000000071C8: BEFE0114
	global_atomic_add_f32 v6, v119, s[8:9] offset:8            // 0000000071CC: DD348008 00087706
	s_mov_b64 exec, s[36:37]                                   // 0000000071D4: BEFE0124
	ds_write_b64 v20, v[120:121]                               // 0000000071D8: D89A0000 00007814
	ds_write_b64 v20, v[124:125] offset:2176                   // 0000000071E0: D89A0880 00007C14
	ds_write_b64 v20, v[128:129] offset:4352                   // 0000000071E8: D89A1100 00008014
	ds_write_b64 v20, v[132:133] offset:6528                   // 0000000071F0: D89A1980 00008414
	ds_write_b64 v20, v[136:137] offset:8704                   // 0000000071F8: D89A2200 00008814
	ds_write_b64 v20, v[140:141] offset:10880                  // 000000007200: D89A2A80 00008C14
	ds_write_b64 v20, v[144:145] offset:13056                  // 000000007208: D89A3300 00009014
	ds_write_b64 v20, v[148:149] offset:15232                  // 000000007210: D89A3B80 00009414
	ds_write_b64 v20, v[152:153] offset:17408                  // 000000007218: D89A4400 00009814
	s_waitcnt lgkmcnt(0)                                       // 000000007220: BF8CC07F
	s_barrier                                                  // 000000007224: BF8A0000
	ds_read_b32 v120, v21                                      // 000000007228: D86C0000 78000015
	ds_read_b32 v121, v21 offset:64                            // 000000007230: D86C0040 79000015
	ds_read_b32 v124, v21 offset:2176                          // 000000007238: D86C0880 7C000015
	ds_read_b32 v125, v21 offset:2240                          // 000000007240: D86C08C0 7D000015
	ds_read_b32 v128, v21 offset:4352                          // 000000007248: D86C1100 80000015
	ds_read_b32 v129, v21 offset:4416                          // 000000007250: D86C1140 81000015
	ds_read_b32 v132, v21 offset:6528                          // 000000007258: D86C1980 84000015
	ds_read_b32 v133, v21 offset:6592                          // 000000007260: D86C19C0 85000015
	ds_read_b32 v136, v21 offset:8704                          // 000000007268: D86C2200 88000015
	ds_read_b32 v137, v21 offset:8768                          // 000000007270: D86C2240 89000015
	ds_read_b32 v140, v21 offset:10880                         // 000000007278: D86C2A80 8C000015
	ds_read_b32 v141, v21 offset:10944                         // 000000007280: D86C2AC0 8D000015
	ds_read_b32 v144, v21 offset:13056                         // 000000007288: D86C3300 90000015
	ds_read_b32 v145, v21 offset:13120                         // 000000007290: D86C3340 91000015
	ds_read_b32 v148, v21 offset:15232                         // 000000007298: D86C3B80 94000015
	ds_read_b32 v149, v21 offset:15296                         // 0000000072A0: D86C3BC0 95000015
	ds_read_b32 v152, v21 offset:17408                         // 0000000072A8: D86C4400 98000015
	ds_read_b32 v153, v21 offset:17472                         // 0000000072B0: D86C4440 99000015
	s_mul_i32 s60, s65, 4                                      // 0000000072B8: 923C8441
	s_add_u32 s8, s60, s8                                      // 0000000072BC: 8008083C
	s_addc_u32 s9, 0, s9                                       // 0000000072C0: 82090980
	s_waitcnt lgkmcnt(0)                                       // 0000000072C4: BF8CC07F
	v_mov_b32_e32 v7, 0                                        // 0000000072C8: 7E0E0280
	s_mov_b64 exec, s[36:37]                                   // 0000000072CC: BEFE0124
	v_mov_b32_e32 v6, v64                                      // 0000000072D0: 7E0C0340
	s_mov_b64 s[60:61], 0                                      // 0000000072D4: BEBC0180
	v_readlane_b32 s82, v3, 0                                  // 0000000072D8: D2890052 00010103
	s_and_b32 s82, s82, 0xffffff                               // 0000000072E0: 8652FF52 00FFFFFF
	s_cmp_lt_u32 s82, s66                                      // 0000000072E8: BF0A4252
	s_cselect_b32 s20, s36, s60                                // 0000000072EC: 85143C24
	v_readlane_b32 s82, v3, 1                                  // 0000000072F0: D2890052 00010303
	s_and_b32 s82, s82, 0xffffff                               // 0000000072F8: 8652FF52 00FFFFFF
	s_cmp_lt_u32 s82, s66                                      // 000000007300: BF0A4252
	s_cselect_b32 s21, s36, s60                                // 000000007304: 85153C24
	s_mov_b64 exec, s[20:21]                                   // 000000007308: BEFE0114
	global_atomic_add_f32 v6, v120, s[8:9]                     // 00000000730C: DD348000 00087806
	s_mov_b64 exec, s[36:37]                                   // 000000007314: BEFE0124
	v_mov_b32_e32 v6, v65                                      // 000000007318: 7E0C0341
	s_mov_b64 s[60:61], 0                                      // 00000000731C: BEBC0180
	v_readlane_b32 s82, v3, 2                                  // 000000007320: D2890052 00010503
	s_and_b32 s82, s82, 0xffffff                               // 000000007328: 8652FF52 00FFFFFF
	s_cmp_lt_u32 s82, s66                                      // 000000007330: BF0A4252
	s_cselect_b32 s20, s36, s60                                // 000000007334: 85143C24
	v_readlane_b32 s82, v3, 3                                  // 000000007338: D2890052 00010703
	s_and_b32 s82, s82, 0xffffff                               // 000000007340: 8652FF52 00FFFFFF
	s_cmp_lt_u32 s82, s66                                      // 000000007348: BF0A4252
	s_cselect_b32 s21, s36, s60                                // 00000000734C: 85153C24
	s_mov_b64 exec, s[20:21]                                   // 000000007350: BEFE0114
	global_atomic_add_f32 v6, v121, s[8:9]                     // 000000007354: DD348000 00087906
	s_mov_b64 exec, s[36:37]                                   // 00000000735C: BEFE0124
	v_mov_b32_e32 v6, v66                                      // 000000007360: 7E0C0342
	s_mov_b64 s[60:61], 0                                      // 000000007364: BEBC0180
	v_readlane_b32 s82, v3, 4                                  // 000000007368: D2890052 00010903
	s_and_b32 s82, s82, 0xffffff                               // 000000007370: 8652FF52 00FFFFFF
	s_cmp_lt_u32 s82, s66                                      // 000000007378: BF0A4252
	s_cselect_b32 s20, s36, s60                                // 00000000737C: 85143C24
	v_readlane_b32 s82, v3, 5                                  // 000000007380: D2890052 00010B03
	s_and_b32 s82, s82, 0xffffff                               // 000000007388: 8652FF52 00FFFFFF
	s_cmp_lt_u32 s82, s66                                      // 000000007390: BF0A4252
	s_cselect_b32 s21, s36, s60                                // 000000007394: 85153C24
	s_mov_b64 exec, s[20:21]                                   // 000000007398: BEFE0114
	global_atomic_add_f32 v6, v124, s[8:9]                     // 00000000739C: DD348000 00087C06
	s_mov_b64 exec, s[36:37]                                   // 0000000073A4: BEFE0124
	v_mov_b32_e32 v6, v67                                      // 0000000073A8: 7E0C0343
	s_mov_b64 s[60:61], 0                                      // 0000000073AC: BEBC0180
	v_readlane_b32 s82, v3, 6                                  // 0000000073B0: D2890052 00010D03
	s_and_b32 s82, s82, 0xffffff                               // 0000000073B8: 8652FF52 00FFFFFF
	s_cmp_lt_u32 s82, s66                                      // 0000000073C0: BF0A4252
	s_cselect_b32 s20, s36, s60                                // 0000000073C4: 85143C24
	v_readlane_b32 s82, v3, 7                                  // 0000000073C8: D2890052 00010F03
	s_and_b32 s82, s82, 0xffffff                               // 0000000073D0: 8652FF52 00FFFFFF
	s_cmp_lt_u32 s82, s66                                      // 0000000073D8: BF0A4252
	s_cselect_b32 s21, s36, s60                                // 0000000073DC: 85153C24
	s_mov_b64 exec, s[20:21]                                   // 0000000073E0: BEFE0114
	global_atomic_add_f32 v6, v125, s[8:9]                     // 0000000073E4: DD348000 00087D06
	s_mov_b64 exec, s[36:37]                                   // 0000000073EC: BEFE0124
	v_mov_b32_e32 v6, v68                                      // 0000000073F0: 7E0C0344
	s_mov_b64 s[60:61], 0                                      // 0000000073F4: BEBC0180
	v_readlane_b32 s82, v3, 8                                  // 0000000073F8: D2890052 00011103
	s_and_b32 s82, s82, 0xffffff                               // 000000007400: 8652FF52 00FFFFFF
	s_cmp_lt_u32 s82, s66                                      // 000000007408: BF0A4252
	s_cselect_b32 s20, s36, s60                                // 00000000740C: 85143C24
	v_readlane_b32 s82, v3, 9                                  // 000000007410: D2890052 00011303
	s_and_b32 s82, s82, 0xffffff                               // 000000007418: 8652FF52 00FFFFFF
	s_cmp_lt_u32 s82, s66                                      // 000000007420: BF0A4252
	s_cselect_b32 s21, s36, s60                                // 000000007424: 85153C24
	s_mov_b64 exec, s[20:21]                                   // 000000007428: BEFE0114
	global_atomic_add_f32 v6, v128, s[8:9]                     // 00000000742C: DD348000 00088006
	s_mov_b64 exec, s[36:37]                                   // 000000007434: BEFE0124
	v_mov_b32_e32 v6, v69                                      // 000000007438: 7E0C0345
	s_mov_b64 s[60:61], 0                                      // 00000000743C: BEBC0180
	v_readlane_b32 s82, v3, 10                                 // 000000007440: D2890052 00011503
	s_and_b32 s82, s82, 0xffffff                               // 000000007448: 8652FF52 00FFFFFF
	s_cmp_lt_u32 s82, s66                                      // 000000007450: BF0A4252
	s_cselect_b32 s20, s36, s60                                // 000000007454: 85143C24
	v_readlane_b32 s82, v3, 11                                 // 000000007458: D2890052 00011703
	s_and_b32 s82, s82, 0xffffff                               // 000000007460: 8652FF52 00FFFFFF
	s_cmp_lt_u32 s82, s66                                      // 000000007468: BF0A4252
	s_cselect_b32 s21, s36, s60                                // 00000000746C: 85153C24
	s_mov_b64 exec, s[20:21]                                   // 000000007470: BEFE0114
	global_atomic_add_f32 v6, v129, s[8:9]                     // 000000007474: DD348000 00088106
	s_mov_b64 exec, s[36:37]                                   // 00000000747C: BEFE0124
	v_mov_b32_e32 v6, v70                                      // 000000007480: 7E0C0346
	s_mov_b64 s[60:61], 0                                      // 000000007484: BEBC0180
	v_readlane_b32 s82, v3, 12                                 // 000000007488: D2890052 00011903
	s_and_b32 s82, s82, 0xffffff                               // 000000007490: 8652FF52 00FFFFFF
	s_cmp_lt_u32 s82, s66                                      // 000000007498: BF0A4252
	s_cselect_b32 s20, s36, s60                                // 00000000749C: 85143C24
	v_readlane_b32 s82, v3, 13                                 // 0000000074A0: D2890052 00011B03
	s_and_b32 s82, s82, 0xffffff                               // 0000000074A8: 8652FF52 00FFFFFF
	s_cmp_lt_u32 s82, s66                                      // 0000000074B0: BF0A4252
	s_cselect_b32 s21, s36, s60                                // 0000000074B4: 85153C24
	s_mov_b64 exec, s[20:21]                                   // 0000000074B8: BEFE0114
	global_atomic_add_f32 v6, v132, s[8:9]                     // 0000000074BC: DD348000 00088406
	s_mov_b64 exec, s[36:37]                                   // 0000000074C4: BEFE0124
	v_mov_b32_e32 v6, v71                                      // 0000000074C8: 7E0C0347
	s_mov_b64 s[60:61], 0                                      // 0000000074CC: BEBC0180
	v_readlane_b32 s82, v3, 14                                 // 0000000074D0: D2890052 00011D03
	s_and_b32 s82, s82, 0xffffff                               // 0000000074D8: 8652FF52 00FFFFFF
	s_cmp_lt_u32 s82, s66                                      // 0000000074E0: BF0A4252
	s_cselect_b32 s20, s36, s60                                // 0000000074E4: 85143C24
	v_readlane_b32 s82, v3, 15                                 // 0000000074E8: D2890052 00011F03
	s_and_b32 s82, s82, 0xffffff                               // 0000000074F0: 8652FF52 00FFFFFF
	s_cmp_lt_u32 s82, s66                                      // 0000000074F8: BF0A4252
	s_cselect_b32 s21, s36, s60                                // 0000000074FC: 85153C24
	s_mov_b64 exec, s[20:21]                                   // 000000007500: BEFE0114
	global_atomic_add_f32 v6, v133, s[8:9]                     // 000000007504: DD348000 00088506
	s_mov_b64 exec, s[36:37]                                   // 00000000750C: BEFE0124
	v_mov_b32_e32 v6, v72                                      // 000000007510: 7E0C0348
	s_mov_b64 s[60:61], 0                                      // 000000007514: BEBC0180
	v_readlane_b32 s82, v3, 16                                 // 000000007518: D2890052 00012103
	s_and_b32 s82, s82, 0xffffff                               // 000000007520: 8652FF52 00FFFFFF
	s_cmp_lt_u32 s82, s66                                      // 000000007528: BF0A4252
	s_cselect_b32 s20, s36, s60                                // 00000000752C: 85143C24
	v_readlane_b32 s82, v3, 17                                 // 000000007530: D2890052 00012303
	s_and_b32 s82, s82, 0xffffff                               // 000000007538: 8652FF52 00FFFFFF
	s_cmp_lt_u32 s82, s66                                      // 000000007540: BF0A4252
	s_cselect_b32 s21, s36, s60                                // 000000007544: 85153C24
	s_mov_b64 exec, s[20:21]                                   // 000000007548: BEFE0114
	global_atomic_add_f32 v6, v136, s[8:9]                     // 00000000754C: DD348000 00088806
	s_mov_b64 exec, s[36:37]                                   // 000000007554: BEFE0124
	v_mov_b32_e32 v6, v73                                      // 000000007558: 7E0C0349
	s_mov_b64 s[60:61], 0                                      // 00000000755C: BEBC0180
	v_readlane_b32 s82, v3, 18                                 // 000000007560: D2890052 00012503
	s_and_b32 s82, s82, 0xffffff                               // 000000007568: 8652FF52 00FFFFFF
	s_cmp_lt_u32 s82, s66                                      // 000000007570: BF0A4252
	s_cselect_b32 s20, s36, s60                                // 000000007574: 85143C24
	v_readlane_b32 s82, v3, 19                                 // 000000007578: D2890052 00012703
	s_and_b32 s82, s82, 0xffffff                               // 000000007580: 8652FF52 00FFFFFF
	s_cmp_lt_u32 s82, s66                                      // 000000007588: BF0A4252
	s_cselect_b32 s21, s36, s60                                // 00000000758C: 85153C24
	s_mov_b64 exec, s[20:21]                                   // 000000007590: BEFE0114
	global_atomic_add_f32 v6, v137, s[8:9]                     // 000000007594: DD348000 00088906
	s_mov_b64 exec, s[36:37]                                   // 00000000759C: BEFE0124
	v_mov_b32_e32 v6, v74                                      // 0000000075A0: 7E0C034A
	s_mov_b64 s[60:61], 0                                      // 0000000075A4: BEBC0180
	v_readlane_b32 s82, v3, 20                                 // 0000000075A8: D2890052 00012903
	s_and_b32 s82, s82, 0xffffff                               // 0000000075B0: 8652FF52 00FFFFFF
	s_cmp_lt_u32 s82, s66                                      // 0000000075B8: BF0A4252
	s_cselect_b32 s20, s36, s60                                // 0000000075BC: 85143C24
	v_readlane_b32 s82, v3, 21                                 // 0000000075C0: D2890052 00012B03
	s_and_b32 s82, s82, 0xffffff                               // 0000000075C8: 8652FF52 00FFFFFF
	s_cmp_lt_u32 s82, s66                                      // 0000000075D0: BF0A4252
	s_cselect_b32 s21, s36, s60                                // 0000000075D4: 85153C24
	s_mov_b64 exec, s[20:21]                                   // 0000000075D8: BEFE0114
	global_atomic_add_f32 v6, v140, s[8:9]                     // 0000000075DC: DD348000 00088C06
	s_mov_b64 exec, s[36:37]                                   // 0000000075E4: BEFE0124
	v_mov_b32_e32 v6, v75                                      // 0000000075E8: 7E0C034B
	s_mov_b64 s[60:61], 0                                      // 0000000075EC: BEBC0180
	v_readlane_b32 s82, v3, 22                                 // 0000000075F0: D2890052 00012D03
	s_and_b32 s82, s82, 0xffffff                               // 0000000075F8: 8652FF52 00FFFFFF
	s_cmp_lt_u32 s82, s66                                      // 000000007600: BF0A4252
	s_cselect_b32 s20, s36, s60                                // 000000007604: 85143C24
	v_readlane_b32 s82, v3, 23                                 // 000000007608: D2890052 00012F03
	s_and_b32 s82, s82, 0xffffff                               // 000000007610: 8652FF52 00FFFFFF
	s_cmp_lt_u32 s82, s66                                      // 000000007618: BF0A4252
	s_cselect_b32 s21, s36, s60                                // 00000000761C: 85153C24
	s_mov_b64 exec, s[20:21]                                   // 000000007620: BEFE0114
	global_atomic_add_f32 v6, v141, s[8:9]                     // 000000007624: DD348000 00088D06
	s_mov_b64 exec, s[36:37]                                   // 00000000762C: BEFE0124
	v_mov_b32_e32 v6, v76                                      // 000000007630: 7E0C034C
	s_mov_b64 s[60:61], 0                                      // 000000007634: BEBC0180
	v_readlane_b32 s82, v3, 24                                 // 000000007638: D2890052 00013103
	s_and_b32 s82, s82, 0xffffff                               // 000000007640: 8652FF52 00FFFFFF
	s_cmp_lt_u32 s82, s66                                      // 000000007648: BF0A4252
	s_cselect_b32 s20, s36, s60                                // 00000000764C: 85143C24
	v_readlane_b32 s82, v3, 25                                 // 000000007650: D2890052 00013303
	s_and_b32 s82, s82, 0xffffff                               // 000000007658: 8652FF52 00FFFFFF
	s_cmp_lt_u32 s82, s66                                      // 000000007660: BF0A4252
	s_cselect_b32 s21, s36, s60                                // 000000007664: 85153C24
	s_mov_b64 exec, s[20:21]                                   // 000000007668: BEFE0114
	global_atomic_add_f32 v6, v144, s[8:9]                     // 00000000766C: DD348000 00089006
	s_mov_b64 exec, s[36:37]                                   // 000000007674: BEFE0124
	v_mov_b32_e32 v6, v77                                      // 000000007678: 7E0C034D
	s_mov_b64 s[60:61], 0                                      // 00000000767C: BEBC0180
	v_readlane_b32 s82, v3, 26                                 // 000000007680: D2890052 00013503
	s_and_b32 s82, s82, 0xffffff                               // 000000007688: 8652FF52 00FFFFFF
	s_cmp_lt_u32 s82, s66                                      // 000000007690: BF0A4252
	s_cselect_b32 s20, s36, s60                                // 000000007694: 85143C24
	v_readlane_b32 s82, v3, 27                                 // 000000007698: D2890052 00013703
	s_and_b32 s82, s82, 0xffffff                               // 0000000076A0: 8652FF52 00FFFFFF
	s_cmp_lt_u32 s82, s66                                      // 0000000076A8: BF0A4252
	s_cselect_b32 s21, s36, s60                                // 0000000076AC: 85153C24
	s_mov_b64 exec, s[20:21]                                   // 0000000076B0: BEFE0114
	global_atomic_add_f32 v6, v145, s[8:9]                     // 0000000076B4: DD348000 00089106
	s_mov_b64 exec, s[36:37]                                   // 0000000076BC: BEFE0124
	v_mov_b32_e32 v6, v78                                      // 0000000076C0: 7E0C034E
	s_mov_b64 s[60:61], 0                                      // 0000000076C4: BEBC0180
	v_readlane_b32 s82, v3, 28                                 // 0000000076C8: D2890052 00013903
	s_and_b32 s82, s82, 0xffffff                               // 0000000076D0: 8652FF52 00FFFFFF
	s_cmp_lt_u32 s82, s66                                      // 0000000076D8: BF0A4252
	s_cselect_b32 s20, s36, s60                                // 0000000076DC: 85143C24
	v_readlane_b32 s82, v3, 29                                 // 0000000076E0: D2890052 00013B03
	s_and_b32 s82, s82, 0xffffff                               // 0000000076E8: 8652FF52 00FFFFFF
	s_cmp_lt_u32 s82, s66                                      // 0000000076F0: BF0A4252
	s_cselect_b32 s21, s36, s60                                // 0000000076F4: 85153C24
	s_mov_b64 exec, s[20:21]                                   // 0000000076F8: BEFE0114
	global_atomic_add_f32 v6, v148, s[8:9]                     // 0000000076FC: DD348000 00089406
	s_mov_b64 exec, s[36:37]                                   // 000000007704: BEFE0124
	v_mov_b32_e32 v6, v79                                      // 000000007708: 7E0C034F
	s_mov_b64 s[60:61], 0                                      // 00000000770C: BEBC0180
	v_readlane_b32 s82, v3, 30                                 // 000000007710: D2890052 00013D03
	s_and_b32 s82, s82, 0xffffff                               // 000000007718: 8652FF52 00FFFFFF
	s_cmp_lt_u32 s82, s66                                      // 000000007720: BF0A4252
	s_cselect_b32 s20, s36, s60                                // 000000007724: 85143C24
	v_readlane_b32 s82, v3, 31                                 // 000000007728: D2890052 00013F03
	s_and_b32 s82, s82, 0xffffff                               // 000000007730: 8652FF52 00FFFFFF
	s_cmp_lt_u32 s82, s66                                      // 000000007738: BF0A4252
	s_cselect_b32 s21, s36, s60                                // 00000000773C: 85153C24
	s_mov_b64 exec, s[20:21]                                   // 000000007740: BEFE0114
	global_atomic_add_f32 v6, v149, s[8:9]                     // 000000007744: DD348000 00089506
	s_mov_b64 exec, s[36:37]                                   // 00000000774C: BEFE0124
	v_mov_b32_e32 v6, v80                                      // 000000007750: 7E0C0350
	s_mov_b64 s[60:61], 0                                      // 000000007754: BEBC0180
	v_readlane_b32 s82, v3, 32                                 // 000000007758: D2890052 00014103
	s_and_b32 s82, s82, 0xffffff                               // 000000007760: 8652FF52 00FFFFFF
	s_cmp_lt_u32 s82, s66                                      // 000000007768: BF0A4252
	s_cselect_b32 s20, s36, s60                                // 00000000776C: 85143C24
	v_readlane_b32 s82, v3, 33                                 // 000000007770: D2890052 00014303
	s_and_b32 s82, s82, 0xffffff                               // 000000007778: 8652FF52 00FFFFFF
	s_cmp_lt_u32 s82, s66                                      // 000000007780: BF0A4252
	s_cselect_b32 s21, s36, s60                                // 000000007784: 85153C24
	s_mov_b64 exec, s[20:21]                                   // 000000007788: BEFE0114
	global_atomic_add_f32 v6, v152, s[8:9]                     // 00000000778C: DD348000 00089806
	s_mov_b64 exec, s[36:37]                                   // 000000007794: BEFE0124
	v_mov_b32_e32 v6, v81                                      // 000000007798: 7E0C0351
	s_mov_b64 s[60:61], 0                                      // 00000000779C: BEBC0180
	v_readlane_b32 s82, v3, 34                                 // 0000000077A0: D2890052 00014503
	s_and_b32 s82, s82, 0xffffff                               // 0000000077A8: 8652FF52 00FFFFFF
	s_cmp_lt_u32 s82, s66                                      // 0000000077B0: BF0A4252
	s_cselect_b32 s20, s36, s60                                // 0000000077B4: 85143C24
	v_readlane_b32 s82, v3, 35                                 // 0000000077B8: D2890052 00014703
	s_and_b32 s82, s82, 0xffffff                               // 0000000077C0: 8652FF52 00FFFFFF
	s_cmp_lt_u32 s82, s66                                      // 0000000077C8: BF0A4252
	s_cselect_b32 s21, s36, s60                                // 0000000077CC: 85153C24
	s_mov_b64 exec, s[20:21]                                   // 0000000077D0: BEFE0114
	global_atomic_add_f32 v6, v153, s[8:9]                     // 0000000077D4: DD348000 00089906
	s_mov_b64 exec, s[36:37]                                   // 0000000077DC: BEFE0124
	ds_write_b64 v20, v[122:123]                               // 0000000077E0: D89A0000 00007A14
	ds_write_b64 v20, v[126:127] offset:2176                   // 0000000077E8: D89A0880 00007E14
	ds_write_b64 v20, v[130:131] offset:4352                   // 0000000077F0: D89A1100 00008214
	ds_write_b64 v20, v[134:135] offset:6528                   // 0000000077F8: D89A1980 00008614
	ds_write_b64 v20, v[138:139] offset:8704                   // 000000007800: D89A2200 00008A14
	ds_write_b64 v20, v[142:143] offset:10880                  // 000000007808: D89A2A80 00008E14
	ds_write_b64 v20, v[146:147] offset:13056                  // 000000007810: D89A3300 00009214
	ds_write_b64 v20, v[150:151] offset:15232                  // 000000007818: D89A3B80 00009614
	ds_write_b64 v20, v[154:155] offset:17408                  // 000000007820: D89A4400 00009A14
	s_waitcnt lgkmcnt(0)                                       // 000000007828: BF8CC07F
	s_barrier                                                  // 00000000782C: BF8A0000
	ds_read_b32 v122, v21                                      // 000000007830: D86C0000 7A000015
	ds_read_b32 v123, v21 offset:64                            // 000000007838: D86C0040 7B000015
	ds_read_b32 v126, v21 offset:2176                          // 000000007840: D86C0880 7E000015
	ds_read_b32 v127, v21 offset:2240                          // 000000007848: D86C08C0 7F000015
	ds_read_b32 v130, v21 offset:4352                          // 000000007850: D86C1100 82000015
	ds_read_b32 v131, v21 offset:4416                          // 000000007858: D86C1140 83000015
	ds_read_b32 v134, v21 offset:6528                          // 000000007860: D86C1980 86000015
	ds_read_b32 v135, v21 offset:6592                          // 000000007868: D86C19C0 87000015
	ds_read_b32 v138, v21 offset:8704                          // 000000007870: D86C2200 8A000015
	ds_read_b32 v139, v21 offset:8768                          // 000000007878: D86C2240 8B000015
	ds_read_b32 v142, v21 offset:10880                         // 000000007880: D86C2A80 8E000015
	ds_read_b32 v143, v21 offset:10944                         // 000000007888: D86C2AC0 8F000015
	ds_read_b32 v146, v21 offset:13056                         // 000000007890: D86C3300 92000015
	ds_read_b32 v147, v21 offset:13120                         // 000000007898: D86C3340 93000015
	ds_read_b32 v150, v21 offset:15232                         // 0000000078A0: D86C3B80 96000015
	ds_read_b32 v151, v21 offset:15296                         // 0000000078A8: D86C3BC0 97000015
	ds_read_b32 v154, v21 offset:17408                         // 0000000078B0: D86C4400 9A000015
	ds_read_b32 v155, v21 offset:17472                         // 0000000078B8: D86C4440 9B000015
	s_waitcnt lgkmcnt(0)                                       // 0000000078C0: BF8CC07F
	v_mov_b32_e32 v7, 0                                        // 0000000078C4: 7E0E0280
	s_mov_b64 exec, s[36:37]                                   // 0000000078C8: BEFE0124
	v_mov_b32_e32 v6, v64                                      // 0000000078CC: 7E0C0340
	s_mov_b64 s[60:61], 0                                      // 0000000078D0: BEBC0180
	v_readlane_b32 s82, v3, 0                                  // 0000000078D4: D2890052 00010103
	s_and_b32 s82, s82, 0xffffff                               // 0000000078DC: 8652FF52 00FFFFFF
	s_cmp_lt_u32 s82, s66                                      // 0000000078E4: BF0A4252
	s_cselect_b32 s20, s36, s60                                // 0000000078E8: 85143C24
	v_readlane_b32 s82, v3, 1                                  // 0000000078EC: D2890052 00010303
	s_and_b32 s82, s82, 0xffffff                               // 0000000078F4: 8652FF52 00FFFFFF
	s_cmp_lt_u32 s82, s66                                      // 0000000078FC: BF0A4252
	s_cselect_b32 s21, s36, s60                                // 000000007900: 85153C24
	s_mov_b64 exec, s[20:21]                                   // 000000007904: BEFE0114
	global_atomic_add_f32 v6, v122, s[8:9] offset:8            // 000000007908: DD348008 00087A06
	s_mov_b64 exec, s[36:37]                                   // 000000007910: BEFE0124
	v_mov_b32_e32 v6, v65                                      // 000000007914: 7E0C0341
	s_mov_b64 s[60:61], 0                                      // 000000007918: BEBC0180
	v_readlane_b32 s82, v3, 2                                  // 00000000791C: D2890052 00010503
	s_and_b32 s82, s82, 0xffffff                               // 000000007924: 8652FF52 00FFFFFF
	s_cmp_lt_u32 s82, s66                                      // 00000000792C: BF0A4252
	s_cselect_b32 s20, s36, s60                                // 000000007930: 85143C24
	v_readlane_b32 s82, v3, 3                                  // 000000007934: D2890052 00010703
	s_and_b32 s82, s82, 0xffffff                               // 00000000793C: 8652FF52 00FFFFFF
	s_cmp_lt_u32 s82, s66                                      // 000000007944: BF0A4252
	s_cselect_b32 s21, s36, s60                                // 000000007948: 85153C24
	s_mov_b64 exec, s[20:21]                                   // 00000000794C: BEFE0114
	global_atomic_add_f32 v6, v123, s[8:9] offset:8            // 000000007950: DD348008 00087B06
	s_mov_b64 exec, s[36:37]                                   // 000000007958: BEFE0124
	v_mov_b32_e32 v6, v66                                      // 00000000795C: 7E0C0342
	s_mov_b64 s[60:61], 0                                      // 000000007960: BEBC0180
	v_readlane_b32 s82, v3, 4                                  // 000000007964: D2890052 00010903
	s_and_b32 s82, s82, 0xffffff                               // 00000000796C: 8652FF52 00FFFFFF
	s_cmp_lt_u32 s82, s66                                      // 000000007974: BF0A4252
	s_cselect_b32 s20, s36, s60                                // 000000007978: 85143C24
	v_readlane_b32 s82, v3, 5                                  // 00000000797C: D2890052 00010B03
	s_and_b32 s82, s82, 0xffffff                               // 000000007984: 8652FF52 00FFFFFF
	s_cmp_lt_u32 s82, s66                                      // 00000000798C: BF0A4252
	s_cselect_b32 s21, s36, s60                                // 000000007990: 85153C24
	s_mov_b64 exec, s[20:21]                                   // 000000007994: BEFE0114
	global_atomic_add_f32 v6, v126, s[8:9] offset:8            // 000000007998: DD348008 00087E06
	s_mov_b64 exec, s[36:37]                                   // 0000000079A0: BEFE0124
	v_mov_b32_e32 v6, v67                                      // 0000000079A4: 7E0C0343
	s_mov_b64 s[60:61], 0                                      // 0000000079A8: BEBC0180
	v_readlane_b32 s82, v3, 6                                  // 0000000079AC: D2890052 00010D03
	s_and_b32 s82, s82, 0xffffff                               // 0000000079B4: 8652FF52 00FFFFFF
	s_cmp_lt_u32 s82, s66                                      // 0000000079BC: BF0A4252
	s_cselect_b32 s20, s36, s60                                // 0000000079C0: 85143C24
	v_readlane_b32 s82, v3, 7                                  // 0000000079C4: D2890052 00010F03
	s_and_b32 s82, s82, 0xffffff                               // 0000000079CC: 8652FF52 00FFFFFF
	s_cmp_lt_u32 s82, s66                                      // 0000000079D4: BF0A4252
	s_cselect_b32 s21, s36, s60                                // 0000000079D8: 85153C24
	s_mov_b64 exec, s[20:21]                                   // 0000000079DC: BEFE0114
	global_atomic_add_f32 v6, v127, s[8:9] offset:8            // 0000000079E0: DD348008 00087F06
	s_mov_b64 exec, s[36:37]                                   // 0000000079E8: BEFE0124
	v_mov_b32_e32 v6, v68                                      // 0000000079EC: 7E0C0344
	s_mov_b64 s[60:61], 0                                      // 0000000079F0: BEBC0180
	v_readlane_b32 s82, v3, 8                                  // 0000000079F4: D2890052 00011103
	s_and_b32 s82, s82, 0xffffff                               // 0000000079FC: 8652FF52 00FFFFFF
	s_cmp_lt_u32 s82, s66                                      // 000000007A04: BF0A4252
	s_cselect_b32 s20, s36, s60                                // 000000007A08: 85143C24
	v_readlane_b32 s82, v3, 9                                  // 000000007A0C: D2890052 00011303
	s_and_b32 s82, s82, 0xffffff                               // 000000007A14: 8652FF52 00FFFFFF
	s_cmp_lt_u32 s82, s66                                      // 000000007A1C: BF0A4252
	s_cselect_b32 s21, s36, s60                                // 000000007A20: 85153C24
	s_mov_b64 exec, s[20:21]                                   // 000000007A24: BEFE0114
	global_atomic_add_f32 v6, v130, s[8:9] offset:8            // 000000007A28: DD348008 00088206
	s_mov_b64 exec, s[36:37]                                   // 000000007A30: BEFE0124
	v_mov_b32_e32 v6, v69                                      // 000000007A34: 7E0C0345
	s_mov_b64 s[60:61], 0                                      // 000000007A38: BEBC0180
	v_readlane_b32 s82, v3, 10                                 // 000000007A3C: D2890052 00011503
	s_and_b32 s82, s82, 0xffffff                               // 000000007A44: 8652FF52 00FFFFFF
	s_cmp_lt_u32 s82, s66                                      // 000000007A4C: BF0A4252
	s_cselect_b32 s20, s36, s60                                // 000000007A50: 85143C24
	v_readlane_b32 s82, v3, 11                                 // 000000007A54: D2890052 00011703
	s_and_b32 s82, s82, 0xffffff                               // 000000007A5C: 8652FF52 00FFFFFF
	s_cmp_lt_u32 s82, s66                                      // 000000007A64: BF0A4252
	s_cselect_b32 s21, s36, s60                                // 000000007A68: 85153C24
	s_mov_b64 exec, s[20:21]                                   // 000000007A6C: BEFE0114
	global_atomic_add_f32 v6, v131, s[8:9] offset:8            // 000000007A70: DD348008 00088306
	s_mov_b64 exec, s[36:37]                                   // 000000007A78: BEFE0124
	v_mov_b32_e32 v6, v70                                      // 000000007A7C: 7E0C0346
	s_mov_b64 s[60:61], 0                                      // 000000007A80: BEBC0180
	v_readlane_b32 s82, v3, 12                                 // 000000007A84: D2890052 00011903
	s_and_b32 s82, s82, 0xffffff                               // 000000007A8C: 8652FF52 00FFFFFF
	s_cmp_lt_u32 s82, s66                                      // 000000007A94: BF0A4252
	s_cselect_b32 s20, s36, s60                                // 000000007A98: 85143C24
	v_readlane_b32 s82, v3, 13                                 // 000000007A9C: D2890052 00011B03
	s_and_b32 s82, s82, 0xffffff                               // 000000007AA4: 8652FF52 00FFFFFF
	s_cmp_lt_u32 s82, s66                                      // 000000007AAC: BF0A4252
	s_cselect_b32 s21, s36, s60                                // 000000007AB0: 85153C24
	s_mov_b64 exec, s[20:21]                                   // 000000007AB4: BEFE0114
	global_atomic_add_f32 v6, v134, s[8:9] offset:8            // 000000007AB8: DD348008 00088606
	s_mov_b64 exec, s[36:37]                                   // 000000007AC0: BEFE0124
	v_mov_b32_e32 v6, v71                                      // 000000007AC4: 7E0C0347
	s_mov_b64 s[60:61], 0                                      // 000000007AC8: BEBC0180
	v_readlane_b32 s82, v3, 14                                 // 000000007ACC: D2890052 00011D03
	s_and_b32 s82, s82, 0xffffff                               // 000000007AD4: 8652FF52 00FFFFFF
	s_cmp_lt_u32 s82, s66                                      // 000000007ADC: BF0A4252
	s_cselect_b32 s20, s36, s60                                // 000000007AE0: 85143C24
	v_readlane_b32 s82, v3, 15                                 // 000000007AE4: D2890052 00011F03
	s_and_b32 s82, s82, 0xffffff                               // 000000007AEC: 8652FF52 00FFFFFF
	s_cmp_lt_u32 s82, s66                                      // 000000007AF4: BF0A4252
	s_cselect_b32 s21, s36, s60                                // 000000007AF8: 85153C24
	s_mov_b64 exec, s[20:21]                                   // 000000007AFC: BEFE0114
	global_atomic_add_f32 v6, v135, s[8:9] offset:8            // 000000007B00: DD348008 00088706
	s_mov_b64 exec, s[36:37]                                   // 000000007B08: BEFE0124
	v_mov_b32_e32 v6, v72                                      // 000000007B0C: 7E0C0348
	s_mov_b64 s[60:61], 0                                      // 000000007B10: BEBC0180
	v_readlane_b32 s82, v3, 16                                 // 000000007B14: D2890052 00012103
	s_and_b32 s82, s82, 0xffffff                               // 000000007B1C: 8652FF52 00FFFFFF
	s_cmp_lt_u32 s82, s66                                      // 000000007B24: BF0A4252
	s_cselect_b32 s20, s36, s60                                // 000000007B28: 85143C24
	v_readlane_b32 s82, v3, 17                                 // 000000007B2C: D2890052 00012303
	s_and_b32 s82, s82, 0xffffff                               // 000000007B34: 8652FF52 00FFFFFF
	s_cmp_lt_u32 s82, s66                                      // 000000007B3C: BF0A4252
	s_cselect_b32 s21, s36, s60                                // 000000007B40: 85153C24
	s_mov_b64 exec, s[20:21]                                   // 000000007B44: BEFE0114
	global_atomic_add_f32 v6, v138, s[8:9] offset:8            // 000000007B48: DD348008 00088A06
	s_mov_b64 exec, s[36:37]                                   // 000000007B50: BEFE0124
	v_mov_b32_e32 v6, v73                                      // 000000007B54: 7E0C0349
	s_mov_b64 s[60:61], 0                                      // 000000007B58: BEBC0180
	v_readlane_b32 s82, v3, 18                                 // 000000007B5C: D2890052 00012503
	s_and_b32 s82, s82, 0xffffff                               // 000000007B64: 8652FF52 00FFFFFF
	s_cmp_lt_u32 s82, s66                                      // 000000007B6C: BF0A4252
	s_cselect_b32 s20, s36, s60                                // 000000007B70: 85143C24
	v_readlane_b32 s82, v3, 19                                 // 000000007B74: D2890052 00012703
	s_and_b32 s82, s82, 0xffffff                               // 000000007B7C: 8652FF52 00FFFFFF
	s_cmp_lt_u32 s82, s66                                      // 000000007B84: BF0A4252
	s_cselect_b32 s21, s36, s60                                // 000000007B88: 85153C24
	s_mov_b64 exec, s[20:21]                                   // 000000007B8C: BEFE0114
	global_atomic_add_f32 v6, v139, s[8:9] offset:8            // 000000007B90: DD348008 00088B06
	s_mov_b64 exec, s[36:37]                                   // 000000007B98: BEFE0124
	v_mov_b32_e32 v6, v74                                      // 000000007B9C: 7E0C034A
	s_mov_b64 s[60:61], 0                                      // 000000007BA0: BEBC0180
	v_readlane_b32 s82, v3, 20                                 // 000000007BA4: D2890052 00012903
	s_and_b32 s82, s82, 0xffffff                               // 000000007BAC: 8652FF52 00FFFFFF
	s_cmp_lt_u32 s82, s66                                      // 000000007BB4: BF0A4252
	s_cselect_b32 s20, s36, s60                                // 000000007BB8: 85143C24
	v_readlane_b32 s82, v3, 21                                 // 000000007BBC: D2890052 00012B03
	s_and_b32 s82, s82, 0xffffff                               // 000000007BC4: 8652FF52 00FFFFFF
	s_cmp_lt_u32 s82, s66                                      // 000000007BCC: BF0A4252
	s_cselect_b32 s21, s36, s60                                // 000000007BD0: 85153C24
	s_mov_b64 exec, s[20:21]                                   // 000000007BD4: BEFE0114
	global_atomic_add_f32 v6, v142, s[8:9] offset:8            // 000000007BD8: DD348008 00088E06
	s_mov_b64 exec, s[36:37]                                   // 000000007BE0: BEFE0124
	v_mov_b32_e32 v6, v75                                      // 000000007BE4: 7E0C034B
	s_mov_b64 s[60:61], 0                                      // 000000007BE8: BEBC0180
	v_readlane_b32 s82, v3, 22                                 // 000000007BEC: D2890052 00012D03
	s_and_b32 s82, s82, 0xffffff                               // 000000007BF4: 8652FF52 00FFFFFF
	s_cmp_lt_u32 s82, s66                                      // 000000007BFC: BF0A4252
	s_cselect_b32 s20, s36, s60                                // 000000007C00: 85143C24
	v_readlane_b32 s82, v3, 23                                 // 000000007C04: D2890052 00012F03
	s_and_b32 s82, s82, 0xffffff                               // 000000007C0C: 8652FF52 00FFFFFF
	s_cmp_lt_u32 s82, s66                                      // 000000007C14: BF0A4252
	s_cselect_b32 s21, s36, s60                                // 000000007C18: 85153C24
	s_mov_b64 exec, s[20:21]                                   // 000000007C1C: BEFE0114
	global_atomic_add_f32 v6, v143, s[8:9] offset:8            // 000000007C20: DD348008 00088F06
	s_mov_b64 exec, s[36:37]                                   // 000000007C28: BEFE0124
	v_mov_b32_e32 v6, v76                                      // 000000007C2C: 7E0C034C
	s_mov_b64 s[60:61], 0                                      // 000000007C30: BEBC0180
	v_readlane_b32 s82, v3, 24                                 // 000000007C34: D2890052 00013103
	s_and_b32 s82, s82, 0xffffff                               // 000000007C3C: 8652FF52 00FFFFFF
	s_cmp_lt_u32 s82, s66                                      // 000000007C44: BF0A4252
	s_cselect_b32 s20, s36, s60                                // 000000007C48: 85143C24
	v_readlane_b32 s82, v3, 25                                 // 000000007C4C: D2890052 00013303
	s_and_b32 s82, s82, 0xffffff                               // 000000007C54: 8652FF52 00FFFFFF
	s_cmp_lt_u32 s82, s66                                      // 000000007C5C: BF0A4252
	s_cselect_b32 s21, s36, s60                                // 000000007C60: 85153C24
	s_mov_b64 exec, s[20:21]                                   // 000000007C64: BEFE0114
	global_atomic_add_f32 v6, v146, s[8:9] offset:8            // 000000007C68: DD348008 00089206
	s_mov_b64 exec, s[36:37]                                   // 000000007C70: BEFE0124
	v_mov_b32_e32 v6, v77                                      // 000000007C74: 7E0C034D
	s_mov_b64 s[60:61], 0                                      // 000000007C78: BEBC0180
	v_readlane_b32 s82, v3, 26                                 // 000000007C7C: D2890052 00013503
	s_and_b32 s82, s82, 0xffffff                               // 000000007C84: 8652FF52 00FFFFFF
	s_cmp_lt_u32 s82, s66                                      // 000000007C8C: BF0A4252
	s_cselect_b32 s20, s36, s60                                // 000000007C90: 85143C24
	v_readlane_b32 s82, v3, 27                                 // 000000007C94: D2890052 00013703
	s_and_b32 s82, s82, 0xffffff                               // 000000007C9C: 8652FF52 00FFFFFF
	s_cmp_lt_u32 s82, s66                                      // 000000007CA4: BF0A4252
	s_cselect_b32 s21, s36, s60                                // 000000007CA8: 85153C24
	s_mov_b64 exec, s[20:21]                                   // 000000007CAC: BEFE0114
	global_atomic_add_f32 v6, v147, s[8:9] offset:8            // 000000007CB0: DD348008 00089306
	s_mov_b64 exec, s[36:37]                                   // 000000007CB8: BEFE0124
	v_mov_b32_e32 v6, v78                                      // 000000007CBC: 7E0C034E
	s_mov_b64 s[60:61], 0                                      // 000000007CC0: BEBC0180
	v_readlane_b32 s82, v3, 28                                 // 000000007CC4: D2890052 00013903
	s_and_b32 s82, s82, 0xffffff                               // 000000007CCC: 8652FF52 00FFFFFF
	s_cmp_lt_u32 s82, s66                                      // 000000007CD4: BF0A4252
	s_cselect_b32 s20, s36, s60                                // 000000007CD8: 85143C24
	v_readlane_b32 s82, v3, 29                                 // 000000007CDC: D2890052 00013B03
	s_and_b32 s82, s82, 0xffffff                               // 000000007CE4: 8652FF52 00FFFFFF
	s_cmp_lt_u32 s82, s66                                      // 000000007CEC: BF0A4252
	s_cselect_b32 s21, s36, s60                                // 000000007CF0: 85153C24
	s_mov_b64 exec, s[20:21]                                   // 000000007CF4: BEFE0114
	global_atomic_add_f32 v6, v150, s[8:9] offset:8            // 000000007CF8: DD348008 00089606
	s_mov_b64 exec, s[36:37]                                   // 000000007D00: BEFE0124
	v_mov_b32_e32 v6, v79                                      // 000000007D04: 7E0C034F
	s_mov_b64 s[60:61], 0                                      // 000000007D08: BEBC0180
	v_readlane_b32 s82, v3, 30                                 // 000000007D0C: D2890052 00013D03
	s_and_b32 s82, s82, 0xffffff                               // 000000007D14: 8652FF52 00FFFFFF
	s_cmp_lt_u32 s82, s66                                      // 000000007D1C: BF0A4252
	s_cselect_b32 s20, s36, s60                                // 000000007D20: 85143C24
	v_readlane_b32 s82, v3, 31                                 // 000000007D24: D2890052 00013F03
	s_and_b32 s82, s82, 0xffffff                               // 000000007D2C: 8652FF52 00FFFFFF
	s_cmp_lt_u32 s82, s66                                      // 000000007D34: BF0A4252
	s_cselect_b32 s21, s36, s60                                // 000000007D38: 85153C24
	s_mov_b64 exec, s[20:21]                                   // 000000007D3C: BEFE0114
	global_atomic_add_f32 v6, v151, s[8:9] offset:8            // 000000007D40: DD348008 00089706
	s_mov_b64 exec, s[36:37]                                   // 000000007D48: BEFE0124
	v_mov_b32_e32 v6, v80                                      // 000000007D4C: 7E0C0350
	s_mov_b64 s[60:61], 0                                      // 000000007D50: BEBC0180
	v_readlane_b32 s82, v3, 32                                 // 000000007D54: D2890052 00014103
	s_and_b32 s82, s82, 0xffffff                               // 000000007D5C: 8652FF52 00FFFFFF
	s_cmp_lt_u32 s82, s66                                      // 000000007D64: BF0A4252
	s_cselect_b32 s20, s36, s60                                // 000000007D68: 85143C24
	v_readlane_b32 s82, v3, 33                                 // 000000007D6C: D2890052 00014303
	s_and_b32 s82, s82, 0xffffff                               // 000000007D74: 8652FF52 00FFFFFF
	s_cmp_lt_u32 s82, s66                                      // 000000007D7C: BF0A4252
	s_cselect_b32 s21, s36, s60                                // 000000007D80: 85153C24
	s_mov_b64 exec, s[20:21]                                   // 000000007D84: BEFE0114
	global_atomic_add_f32 v6, v154, s[8:9] offset:8            // 000000007D88: DD348008 00089A06
	s_mov_b64 exec, s[36:37]                                   // 000000007D90: BEFE0124
	v_mov_b32_e32 v6, v81                                      // 000000007D94: 7E0C0351
	s_mov_b64 s[60:61], 0                                      // 000000007D98: BEBC0180
	v_readlane_b32 s82, v3, 34                                 // 000000007D9C: D2890052 00014503
	s_and_b32 s82, s82, 0xffffff                               // 000000007DA4: 8652FF52 00FFFFFF
	s_cmp_lt_u32 s82, s66                                      // 000000007DAC: BF0A4252
	s_cselect_b32 s20, s36, s60                                // 000000007DB0: 85143C24
	v_readlane_b32 s82, v3, 35                                 // 000000007DB4: D2890052 00014703
	s_and_b32 s82, s82, 0xffffff                               // 000000007DBC: 8652FF52 00FFFFFF
	s_cmp_lt_u32 s82, s66                                      // 000000007DC4: BF0A4252
	s_cselect_b32 s21, s36, s60                                // 000000007DC8: 85153C24
	s_mov_b64 exec, s[20:21]                                   // 000000007DCC: BEFE0114
	global_atomic_add_f32 v6, v155, s[8:9] offset:8            // 000000007DD0: DD348008 00089B06
	s_mov_b64 exec, s[36:37]                                   // 000000007DD8: BEFE0124
	s_branch label_2667                                        // 000000007DDC: BF82116C

0000000000007de0 <label_14FB>:
	s_waitcnt vmcnt(0) lgkmcnt(0)                              // 000000007DE0: BF8C0070
	s_barrier                                                  // 000000007DE4: BF8A0000
	v_mfma_f32_16x16x32_fp8_fp8 v[84:87], a[144:145], a[0:1], v[84:87]// 000000007DE8: D3F30054 1D520190
	buffer_load_dwordx4 a[152:155], v82, s[84:87], 0 offen     // 000000007DF0: E05C1000 80959852
	v_mfma_f32_16x16x32_fp8_fp8 v[84:87], a[146:147], a[2:3], v[84:87]// 000000007DF8: D3F30054 1D520592
	v_mfma_f32_16x16x32_fp8_fp8 v[84:87], a[148:149], a[4:5], v[84:87]// 000000007E00: D3F30054 1D520994
	v_mfma_f32_16x16x32_fp8_fp8 v[84:87], a[150:151], a[6:7], v[84:87]// 000000007E08: D3F30054 1D520D96
	v_mfma_f32_16x16x32_fp8_fp8 v[88:91], a[144:145], a[8:9], v[88:91]// 000000007E10: D3F30058 1D621190
	buffer_load_dwordx4 a[156:159], v82, s[84:87], 0 offen offset:1024// 000000007E18: E05C1400 80959C52
	buffer_load_dword v64, s[20:23], 0 offen lds               // 000000007E20: E0511000 80050040
	s_add_u32 m0, 0x100, s48                                   // 000000007E28: 807C30FF 00000100
	v_mfma_f32_16x16x32_fp8_fp8 v[88:91], a[146:147], a[10:11], v[88:91]// 000000007E30: D3F30058 1D621592
	v_mfma_f32_16x16x32_fp8_fp8 v[88:91], a[148:149], a[12:13], v[88:91]// 000000007E38: D3F30058 1D621994
	buffer_load_dword v65, s[20:23], 0 offen lds               // 000000007E40: E0511000 80050041
	s_add_u32 m0, 0x200, s48                                   // 000000007E48: 807C30FF 00000200
	v_mfma_f32_16x16x32_fp8_fp8 v[88:91], a[150:151], a[14:15], v[88:91]// 000000007E50: D3F30058 1D621D96
	v_mfma_f32_16x16x32_fp8_fp8 v[92:95], a[144:145], a[16:17], v[92:95]// 000000007E58: D3F3005C 1D722190
	buffer_load_dword v66, s[20:23], 0 offen lds               // 000000007E60: E0511000 80050042
	s_add_u32 m0, 0x300, s48                                   // 000000007E68: 807C30FF 00000300
	v_mfma_f32_16x16x32_fp8_fp8 v[92:95], a[146:147], a[18:19], v[92:95]// 000000007E70: D3F3005C 1D722592
	v_mfma_f32_16x16x32_fp8_fp8 v[92:95], a[148:149], a[20:21], v[92:95]// 000000007E78: D3F3005C 1D722994
	buffer_load_dword v67, s[20:23], 0 offen lds               // 000000007E80: E0511000 80050043
	s_add_u32 m0, 0x400, s48                                   // 000000007E88: 807C30FF 00000400
	v_mfma_f32_16x16x32_fp8_fp8 v[92:95], a[150:151], a[22:23], v[92:95]// 000000007E90: D3F3005C 1D722D96
	v_mfma_f32_16x16x32_fp8_fp8 v[96:99], a[144:145], a[24:25], v[96:99]// 000000007E98: D3F30060 1D823190
	buffer_load_dword v68, s[20:23], 0 offen lds               // 000000007EA0: E0511000 80050044
	s_add_u32 m0, 0x500, s48                                   // 000000007EA8: 807C30FF 00000500
	v_mfma_f32_16x16x32_fp8_fp8 v[96:99], a[146:147], a[26:27], v[96:99]// 000000007EB0: D3F30060 1D823592
	v_mfma_f32_16x16x32_fp8_fp8 v[96:99], a[148:149], a[28:29], v[96:99]// 000000007EB8: D3F30060 1D823994
	buffer_load_dword v69, s[20:23], 0 offen lds               // 000000007EC0: E0511000 80050045
	s_add_u32 m0, 0x600, s48                                   // 000000007EC8: 807C30FF 00000600
	v_mfma_f32_16x16x32_fp8_fp8 v[96:99], a[150:151], a[30:31], v[96:99]// 000000007ED0: D3F30060 1D823D96
	v_mfma_f32_16x16x32_fp8_fp8 v[100:103], a[144:145], a[32:33], v[100:103]// 000000007ED8: D3F30064 1D924190
	buffer_load_dword v70, s[20:23], 0 offen lds               // 000000007EE0: E0511000 80050046
	s_add_u32 m0, 0x700, s48                                   // 000000007EE8: 807C30FF 00000700
	v_mfma_f32_16x16x32_fp8_fp8 v[100:103], a[146:147], a[34:35], v[100:103]// 000000007EF0: D3F30064 1D924592
	v_mfma_f32_16x16x32_fp8_fp8 v[100:103], a[148:149], a[36:37], v[100:103]// 000000007EF8: D3F30064 1D924994
	buffer_load_dword v71, s[20:23], 0 offen lds               // 000000007F00: E0511000 80050047
	s_add_u32 m0, 0x800, s48                                   // 000000007F08: 807C30FF 00000800
	v_mfma_f32_16x16x32_fp8_fp8 v[100:103], a[150:151], a[38:39], v[100:103]// 000000007F10: D3F30064 1D924D96
	v_mfma_f32_16x16x32_fp8_fp8 v[104:107], a[144:145], a[40:41], v[104:107]// 000000007F18: D3F30068 1DA25190
	buffer_load_dword v72, s[20:23], 0 offen lds               // 000000007F20: E0511000 80050048
	s_add_u32 m0, 0x900, s48                                   // 000000007F28: 807C30FF 00000900
	v_mfma_f32_16x16x32_fp8_fp8 v[104:107], a[146:147], a[42:43], v[104:107]// 000000007F30: D3F30068 1DA25592
	v_mfma_f32_16x16x32_fp8_fp8 v[104:107], a[148:149], a[44:45], v[104:107]// 000000007F38: D3F30068 1DA25994
	buffer_load_dword v73, s[20:23], 0 offen lds               // 000000007F40: E0511000 80050049
	s_add_u32 m0, 0xa00, s48                                   // 000000007F48: 807C30FF 00000A00
	v_mfma_f32_16x16x32_fp8_fp8 v[104:107], a[150:151], a[46:47], v[104:107]// 000000007F50: D3F30068 1DA25D96
	v_mfma_f32_16x16x32_fp8_fp8 v[108:111], a[144:145], a[48:49], v[108:111]// 000000007F58: D3F3006C 1DB26190
	buffer_load_dword v74, s[20:23], 0 offen lds               // 000000007F60: E0511000 8005004A
	s_add_u32 m0, 0xb00, s48                                   // 000000007F68: 807C30FF 00000B00
	v_mfma_f32_16x16x32_fp8_fp8 v[108:111], a[146:147], a[50:51], v[108:111]// 000000007F70: D3F3006C 1DB26592
	v_mfma_f32_16x16x32_fp8_fp8 v[108:111], a[148:149], a[52:53], v[108:111]// 000000007F78: D3F3006C 1DB26994
	buffer_load_dword v75, s[20:23], 0 offen lds               // 000000007F80: E0511000 8005004B
	s_add_u32 m0, 0xc00, s48                                   // 000000007F88: 807C30FF 00000C00
	v_mfma_f32_16x16x32_fp8_fp8 v[108:111], a[150:151], a[54:55], v[108:111]// 000000007F90: D3F3006C 1DB26D96
	v_mfma_f32_16x16x32_fp8_fp8 v[112:115], a[144:145], a[56:57], v[112:115]// 000000007F98: D3F30070 1DC27190
	buffer_load_dword v76, s[20:23], 0 offen lds               // 000000007FA0: E0511000 8005004C
	s_add_u32 m0, 0xd00, s48                                   // 000000007FA8: 807C30FF 00000D00
	v_mfma_f32_16x16x32_fp8_fp8 v[112:115], a[146:147], a[58:59], v[112:115]// 000000007FB0: D3F30070 1DC27592
	v_mfma_f32_16x16x32_fp8_fp8 v[112:115], a[148:149], a[60:61], v[112:115]// 000000007FB8: D3F30070 1DC27994
	buffer_load_dword v77, s[20:23], 0 offen lds               // 000000007FC0: E0511000 8005004D
	s_add_u32 m0, 0xe00, s48                                   // 000000007FC8: 807C30FF 00000E00
	v_mfma_f32_16x16x32_fp8_fp8 v[112:115], a[150:151], a[62:63], v[112:115]// 000000007FD0: D3F30070 1DC27D96
	v_mfma_f32_16x16x32_fp8_fp8 v[116:119], a[144:145], a[64:65], v[116:119]// 000000007FD8: D3F30074 1DD28190
	buffer_load_dword v78, s[20:23], 0 offen lds               // 000000007FE0: E0511000 8005004E
	s_add_u32 m0, 0xf00, s48                                   // 000000007FE8: 807C30FF 00000F00
	v_mfma_f32_16x16x32_fp8_fp8 v[116:119], a[146:147], a[66:67], v[116:119]// 000000007FF0: D3F30074 1DD28592
	s_add_u32 s60, 0x80, s80                                   // 000000007FF8: 803C50FF 00000080
	s_cmp_lt_u32 s60, s81                                      // 000000008000: BF0A513C
	s_cselect_b32 s83, s83, 0                                  // 000000008004: 85538053
	v_mfma_f32_16x16x32_fp8_fp8 v[116:119], a[148:149], a[68:69], v[116:119]// 000000008008: D3F30074 1DD28994
	buffer_load_dword v79, s[20:23], 0 offen lds               // 000000008010: E0511000 8005004F
	s_add_u32 m0, 0x1000, s48                                  // 000000008018: 807C30FF 00001000
	v_mfma_f32_16x16x32_fp8_fp8 v[116:119], a[150:151], a[70:71], v[116:119]// 000000008020: D3F30074 1DD28D96
	buffer_load_dword v80, s[20:23], 0 offen lds               // 000000008028: E0511000 80050050
	s_add_u32 m0, 0x1100, s48                                  // 000000008030: 807C30FF 00001100
	buffer_load_dword v81, s[20:23], 0 offen lds               // 000000008038: E0511000 80050051
	s_add_u32 m0, 0, s49                                       // 000000008040: 807C3180
	s_waitcnt vmcnt(18)                                        // 000000008044: BF8C4F72
	v_mfma_f32_16x16x32_fp8_fp8 v[120:123], a[152:153], a[0:1], v[120:123]// 000000008048: D3F30078 1DE20198
	buffer_load_dwordx4 a[144:147], v82, s[24:27], 0 offen     // 000000008050: E05C1000 80869052
	v_mfma_f32_16x16x32_fp8_fp8 v[120:123], a[154:155], a[2:3], v[120:123]// 000000008058: D3F30078 1DE2059A
	v_mfma_f32_16x16x32_fp8_fp8 v[120:123], a[156:157], a[4:5], v[120:123]// 000000008060: D3F30078 1DE2099C
	ds_read_b128 a[72:75], v2 offset:18560                     // 000000008068: DBFE4880 48000002
	ds_read_b128 a[76:79], v2 offset:18624                     // 000000008070: DBFE48C0 4C000002
	v_mfma_f32_16x16x32_fp8_fp8 v[120:123], a[158:159], a[6:7], v[120:123]// 000000008078: D3F30078 1DE20D9E
	v_mfma_f32_16x16x32_fp8_fp8 v[124:127], a[152:153], a[8:9], v[124:127]// 000000008080: D3F3007C 1DF21198
	buffer_load_dwordx4 a[148:151], v82, s[24:27], 0 offen offset:1024// 000000008088: E05C1400 80869452
	v_mfma_f32_16x16x32_fp8_fp8 v[124:127], a[154:155], a[10:11], v[124:127]// 000000008090: D3F3007C 1DF2159A
	v_mfma_f32_16x16x32_fp8_fp8 v[124:127], a[156:157], a[12:13], v[124:127]// 000000008098: D3F3007C 1DF2199C
	ds_read_b128 a[80:83], v2 offset:19072                     // 0000000080A0: DBFE4A80 50000002
	ds_read_b128 a[84:87], v2 offset:19136                     // 0000000080A8: DBFE4AC0 54000002
	v_mfma_f32_16x16x32_fp8_fp8 v[124:127], a[158:159], a[14:15], v[124:127]// 0000000080B0: D3F3007C 1DF21D9E
	v_mfma_f32_16x16x32_fp8_fp8 v[128:131], a[152:153], a[16:17], v[128:131]// 0000000080B8: D3F30080 1E022198
	v_mfma_f32_16x16x32_fp8_fp8 v[128:131], a[154:155], a[18:19], v[128:131]// 0000000080C0: D3F30080 1E02259A
	v_mfma_f32_16x16x32_fp8_fp8 v[128:131], a[156:157], a[20:21], v[128:131]// 0000000080C8: D3F30080 1E02299C
	ds_read_b128 a[88:91], v2 offset:19584                     // 0000000080D0: DBFE4C80 58000002
	ds_read_b128 a[92:95], v2 offset:19648                     // 0000000080D8: DBFE4CC0 5C000002
	v_mfma_f32_16x16x32_fp8_fp8 v[128:131], a[158:159], a[22:23], v[128:131]// 0000000080E0: D3F30080 1E022D9E
	v_mfma_f32_16x16x32_fp8_fp8 v[132:135], a[152:153], a[24:25], v[132:135]// 0000000080E8: D3F30084 1E123198
	v_mfma_f32_16x16x32_fp8_fp8 v[132:135], a[154:155], a[26:27], v[132:135]// 0000000080F0: D3F30084 1E12359A
	v_mfma_f32_16x16x32_fp8_fp8 v[132:135], a[156:157], a[28:29], v[132:135]// 0000000080F8: D3F30084 1E12399C
	ds_read_b128 a[96:99], v2 offset:20096                     // 000000008100: DBFE4E80 60000002
	ds_read_b128 a[100:103], v2 offset:20160                   // 000000008108: DBFE4EC0 64000002
	v_mfma_f32_16x16x32_fp8_fp8 v[132:135], a[158:159], a[30:31], v[132:135]// 000000008110: D3F30084 1E123D9E
	v_mfma_f32_16x16x32_fp8_fp8 v[136:139], a[152:153], a[32:33], v[136:139]// 000000008118: D3F30088 1E224198
	v_mfma_f32_16x16x32_fp8_fp8 v[136:139], a[154:155], a[34:35], v[136:139]// 000000008120: D3F30088 1E22459A
	v_mfma_f32_16x16x32_fp8_fp8 v[136:139], a[156:157], a[36:37], v[136:139]// 000000008128: D3F30088 1E22499C
	ds_read_b128 a[104:107], v2 offset:20608                   // 000000008130: DBFE5080 68000002
	ds_read_b128 a[108:111], v2 offset:20672                   // 000000008138: DBFE50C0 6C000002
	v_mfma_f32_16x16x32_fp8_fp8 v[136:139], a[158:159], a[38:39], v[136:139]// 000000008140: D3F30088 1E224D9E
	v_mfma_f32_16x16x32_fp8_fp8 v[140:143], a[152:153], a[40:41], v[140:143]// 000000008148: D3F3008C 1E325198
	v_mfma_f32_16x16x32_fp8_fp8 v[140:143], a[154:155], a[42:43], v[140:143]// 000000008150: D3F3008C 1E32559A
	v_mfma_f32_16x16x32_fp8_fp8 v[140:143], a[156:157], a[44:45], v[140:143]// 000000008158: D3F3008C 1E32599C
	ds_read_b128 a[112:115], v2 offset:21120                   // 000000008160: DBFE5280 70000002
	ds_read_b128 a[116:119], v2 offset:21184                   // 000000008168: DBFE52C0 74000002
	v_mfma_f32_16x16x32_fp8_fp8 v[140:143], a[158:159], a[46:47], v[140:143]// 000000008170: D3F3008C 1E325D9E
	v_mfma_f32_16x16x32_fp8_fp8 v[144:147], a[152:153], a[48:49], v[144:147]// 000000008178: D3F30090 1E426198
	v_mfma_f32_16x16x32_fp8_fp8 v[144:147], a[154:155], a[50:51], v[144:147]// 000000008180: D3F30090 1E42659A
	v_mfma_f32_16x16x32_fp8_fp8 v[144:147], a[156:157], a[52:53], v[144:147]// 000000008188: D3F30090 1E42699C
	ds_read_b128 a[120:123], v2 offset:21632                   // 000000008190: DBFE5480 78000002
	ds_read_b128 a[124:127], v2 offset:21696                   // 000000008198: DBFE54C0 7C000002
	v_mfma_f32_16x16x32_fp8_fp8 v[144:147], a[158:159], a[54:55], v[144:147]// 0000000081A0: D3F30090 1E426D9E
	v_mfma_f32_16x16x32_fp8_fp8 v[148:151], a[152:153], a[56:57], v[148:151]// 0000000081A8: D3F30094 1E527198
	v_mfma_f32_16x16x32_fp8_fp8 v[148:151], a[154:155], a[58:59], v[148:151]// 0000000081B0: D3F30094 1E52759A
	v_mfma_f32_16x16x32_fp8_fp8 v[148:151], a[156:157], a[60:61], v[148:151]// 0000000081B8: D3F30094 1E52799C
	ds_read_b128 a[128:131], v2 offset:22144                   // 0000000081C0: DBFE5680 80000002
	ds_read_b128 a[132:135], v2 offset:22208                   // 0000000081C8: DBFE56C0 84000002
	s_add_u32 s60, 0x180, s80                                  // 0000000081D0: 803C50FF 00000180
	s_cmp_lt_u32 s60, s81                                      // 0000000081D8: BF0A513C
	s_cselect_b32 s57, s57, 0                                  // 0000000081DC: 85398039
	v_mfma_f32_16x16x32_fp8_fp8 v[148:151], a[158:159], a[62:63], v[148:151]// 0000000081E0: D3F30094 1E527D9E
	s_add_u32 s60, 0x100, s80                                  // 0000000081E8: 803C50FF 00000100
	s_cmp_lt_u32 s60, s81                                      // 0000000081F0: BF0A513C
	s_cselect_b32 s58, s58, 0                                  // 0000000081F4: 853A803A
	v_mfma_f32_16x16x32_fp8_fp8 v[152:155], a[152:153], a[64:65], v[152:155]// 0000000081F8: D3F30098 1E628198
	s_add_u32 s24, s58, s24                                    // 000000008200: 8018183A
	s_addc_u32 s25, 0, s25                                     // 000000008204: 82191980
	v_mfma_f32_16x16x32_fp8_fp8 v[152:155], a[154:155], a[66:67], v[152:155]// 000000008208: D3F30098 1E62859A
	s_add_u32 s20, s57, s20                                    // 000000008210: 80141439
	s_addc_u32 s21, 0, s21                                     // 000000008214: 82151580
	v_mfma_f32_16x16x32_fp8_fp8 v[152:155], a[156:157], a[68:69], v[152:155]// 000000008218: D3F30098 1E62899C
	ds_read_b128 a[136:139], v2 offset:22656                   // 000000008220: DBFE5880 88000002
	ds_read_b128 a[140:143], v2 offset:22720                   // 000000008228: DBFE58C0 8C000002
	s_add_u32 s84, s83, s84                                    // 000000008230: 80545453
	s_addc_u32 s85, 0, s85                                     // 000000008234: 82555580
	v_mfma_f32_16x16x32_fp8_fp8 v[152:155], a[158:159], a[70:71], v[152:155]// 000000008238: D3F30098 1E628D9E
	s_addk_i32 s80, 0x80                                       // 000000008240: B7500080
	s_cmp_lt_i32 s80, s81                                      // 000000008244: BF045150
	s_cbranch_scc0 label_1732                                  // 000000008248: BF84011C
	s_waitcnt vmcnt(0) lgkmcnt(0)                              // 00000000824C: BF8C0070
	s_barrier                                                  // 000000008250: BF8A0000
	v_mfma_f32_16x16x32_fp8_fp8 v[84:87], a[144:145], a[72:73], v[84:87]// 000000008254: D3F30054 1D529190
	buffer_load_dwordx4 a[152:155], v82, s[84:87], 0 offen     // 00000000825C: E05C1000 80959852
	v_mfma_f32_16x16x32_fp8_fp8 v[84:87], a[146:147], a[74:75], v[84:87]// 000000008264: D3F30054 1D529592
	v_mfma_f32_16x16x32_fp8_fp8 v[84:87], a[148:149], a[76:77], v[84:87]// 00000000826C: D3F30054 1D529994
	v_mfma_f32_16x16x32_fp8_fp8 v[84:87], a[150:151], a[78:79], v[84:87]// 000000008274: D3F30054 1D529D96
	v_mfma_f32_16x16x32_fp8_fp8 v[88:91], a[144:145], a[80:81], v[88:91]// 00000000827C: D3F30058 1D62A190
	buffer_load_dwordx4 a[156:159], v82, s[84:87], 0 offen offset:1024// 000000008284: E05C1400 80959C52
	buffer_load_dword v64, s[20:23], 0 offen lds               // 00000000828C: E0511000 80050040
	s_add_u32 m0, 0x100, s49                                   // 000000008294: 807C31FF 00000100
	v_mfma_f32_16x16x32_fp8_fp8 v[88:91], a[146:147], a[82:83], v[88:91]// 00000000829C: D3F30058 1D62A592
	v_mfma_f32_16x16x32_fp8_fp8 v[88:91], a[148:149], a[84:85], v[88:91]// 0000000082A4: D3F30058 1D62A994
	buffer_load_dword v65, s[20:23], 0 offen lds               // 0000000082AC: E0511000 80050041
	s_add_u32 m0, 0x200, s49                                   // 0000000082B4: 807C31FF 00000200
	v_mfma_f32_16x16x32_fp8_fp8 v[88:91], a[150:151], a[86:87], v[88:91]// 0000000082BC: D3F30058 1D62AD96
	v_mfma_f32_16x16x32_fp8_fp8 v[92:95], a[144:145], a[88:89], v[92:95]// 0000000082C4: D3F3005C 1D72B190
	buffer_load_dword v66, s[20:23], 0 offen lds               // 0000000082CC: E0511000 80050042
	s_add_u32 m0, 0x300, s49                                   // 0000000082D4: 807C31FF 00000300
	v_mfma_f32_16x16x32_fp8_fp8 v[92:95], a[146:147], a[90:91], v[92:95]// 0000000082DC: D3F3005C 1D72B592
	v_mfma_f32_16x16x32_fp8_fp8 v[92:95], a[148:149], a[92:93], v[92:95]// 0000000082E4: D3F3005C 1D72B994
	buffer_load_dword v67, s[20:23], 0 offen lds               // 0000000082EC: E0511000 80050043
	s_add_u32 m0, 0x400, s49                                   // 0000000082F4: 807C31FF 00000400
	v_mfma_f32_16x16x32_fp8_fp8 v[92:95], a[150:151], a[94:95], v[92:95]// 0000000082FC: D3F3005C 1D72BD96
	v_mfma_f32_16x16x32_fp8_fp8 v[96:99], a[144:145], a[96:97], v[96:99]// 000000008304: D3F30060 1D82C190
	buffer_load_dword v68, s[20:23], 0 offen lds               // 00000000830C: E0511000 80050044
	s_add_u32 m0, 0x500, s49                                   // 000000008314: 807C31FF 00000500
	v_mfma_f32_16x16x32_fp8_fp8 v[96:99], a[146:147], a[98:99], v[96:99]// 00000000831C: D3F30060 1D82C592
	v_mfma_f32_16x16x32_fp8_fp8 v[96:99], a[148:149], a[100:101], v[96:99]// 000000008324: D3F30060 1D82C994
	buffer_load_dword v69, s[20:23], 0 offen lds               // 00000000832C: E0511000 80050045
	s_add_u32 m0, 0x600, s49                                   // 000000008334: 807C31FF 00000600
	v_mfma_f32_16x16x32_fp8_fp8 v[96:99], a[150:151], a[102:103], v[96:99]// 00000000833C: D3F30060 1D82CD96
	v_mfma_f32_16x16x32_fp8_fp8 v[100:103], a[144:145], a[104:105], v[100:103]// 000000008344: D3F30064 1D92D190
	buffer_load_dword v70, s[20:23], 0 offen lds               // 00000000834C: E0511000 80050046
	s_add_u32 m0, 0x700, s49                                   // 000000008354: 807C31FF 00000700
	v_mfma_f32_16x16x32_fp8_fp8 v[100:103], a[146:147], a[106:107], v[100:103]// 00000000835C: D3F30064 1D92D592
	v_mfma_f32_16x16x32_fp8_fp8 v[100:103], a[148:149], a[108:109], v[100:103]// 000000008364: D3F30064 1D92D994
	buffer_load_dword v71, s[20:23], 0 offen lds               // 00000000836C: E0511000 80050047
	s_add_u32 m0, 0x800, s49                                   // 000000008374: 807C31FF 00000800
	v_mfma_f32_16x16x32_fp8_fp8 v[100:103], a[150:151], a[110:111], v[100:103]// 00000000837C: D3F30064 1D92DD96
	v_mfma_f32_16x16x32_fp8_fp8 v[104:107], a[144:145], a[112:113], v[104:107]// 000000008384: D3F30068 1DA2E190
	buffer_load_dword v72, s[20:23], 0 offen lds               // 00000000838C: E0511000 80050048
	s_add_u32 m0, 0x900, s49                                   // 000000008394: 807C31FF 00000900
	v_mfma_f32_16x16x32_fp8_fp8 v[104:107], a[146:147], a[114:115], v[104:107]// 00000000839C: D3F30068 1DA2E592
	v_mfma_f32_16x16x32_fp8_fp8 v[104:107], a[148:149], a[116:117], v[104:107]// 0000000083A4: D3F30068 1DA2E994
	buffer_load_dword v73, s[20:23], 0 offen lds               // 0000000083AC: E0511000 80050049
	s_add_u32 m0, 0xa00, s49                                   // 0000000083B4: 807C31FF 00000A00
	v_mfma_f32_16x16x32_fp8_fp8 v[104:107], a[150:151], a[118:119], v[104:107]// 0000000083BC: D3F30068 1DA2ED96
	v_mfma_f32_16x16x32_fp8_fp8 v[108:111], a[144:145], a[120:121], v[108:111]// 0000000083C4: D3F3006C 1DB2F190
	buffer_load_dword v74, s[20:23], 0 offen lds               // 0000000083CC: E0511000 8005004A
	s_add_u32 m0, 0xb00, s49                                   // 0000000083D4: 807C31FF 00000B00
	v_mfma_f32_16x16x32_fp8_fp8 v[108:111], a[146:147], a[122:123], v[108:111]// 0000000083DC: D3F3006C 1DB2F592
	v_mfma_f32_16x16x32_fp8_fp8 v[108:111], a[148:149], a[124:125], v[108:111]// 0000000083E4: D3F3006C 1DB2F994
	buffer_load_dword v75, s[20:23], 0 offen lds               // 0000000083EC: E0511000 8005004B
	s_add_u32 m0, 0xc00, s49                                   // 0000000083F4: 807C31FF 00000C00
	v_mfma_f32_16x16x32_fp8_fp8 v[108:111], a[150:151], a[126:127], v[108:111]// 0000000083FC: D3F3006C 1DB2FD96
	v_mfma_f32_16x16x32_fp8_fp8 v[112:115], a[144:145], a[128:129], v[112:115]// 000000008404: D3F30070 1DC30190
	buffer_load_dword v76, s[20:23], 0 offen lds               // 00000000840C: E0511000 8005004C
	s_add_u32 m0, 0xd00, s49                                   // 000000008414: 807C31FF 00000D00
	v_mfma_f32_16x16x32_fp8_fp8 v[112:115], a[146:147], a[130:131], v[112:115]// 00000000841C: D3F30070 1DC30592
	v_mfma_f32_16x16x32_fp8_fp8 v[112:115], a[148:149], a[132:133], v[112:115]// 000000008424: D3F30070 1DC30994
	buffer_load_dword v77, s[20:23], 0 offen lds               // 00000000842C: E0511000 8005004D
	s_add_u32 m0, 0xe00, s49                                   // 000000008434: 807C31FF 00000E00
	v_mfma_f32_16x16x32_fp8_fp8 v[112:115], a[150:151], a[134:135], v[112:115]// 00000000843C: D3F30070 1DC30D96
	v_mfma_f32_16x16x32_fp8_fp8 v[116:119], a[144:145], a[136:137], v[116:119]// 000000008444: D3F30074 1DD31190
	buffer_load_dword v78, s[20:23], 0 offen lds               // 00000000844C: E0511000 8005004E
	s_add_u32 m0, 0xf00, s49                                   // 000000008454: 807C31FF 00000F00
	v_mfma_f32_16x16x32_fp8_fp8 v[116:119], a[146:147], a[138:139], v[116:119]// 00000000845C: D3F30074 1DD31592
	s_add_u32 s60, 0x80, s80                                   // 000000008464: 803C50FF 00000080
	s_cmp_lt_u32 s60, s81                                      // 00000000846C: BF0A513C
	s_cselect_b32 s83, s83, 0                                  // 000000008470: 85538053
	v_mfma_f32_16x16x32_fp8_fp8 v[116:119], a[148:149], a[140:141], v[116:119]// 000000008474: D3F30074 1DD31994
	buffer_load_dword v79, s[20:23], 0 offen lds               // 00000000847C: E0511000 8005004F
	s_add_u32 m0, 0x1000, s49                                  // 000000008484: 807C31FF 00001000
	v_mfma_f32_16x16x32_fp8_fp8 v[116:119], a[150:151], a[142:143], v[116:119]// 00000000848C: D3F30074 1DD31D96
	buffer_load_dword v80, s[20:23], 0 offen lds               // 000000008494: E0511000 80050050
	s_add_u32 m0, 0x1100, s49                                  // 00000000849C: 807C31FF 00001100
	buffer_load_dword v81, s[20:23], 0 offen lds               // 0000000084A4: E0511000 80050051
	s_add_u32 m0, 0, s48                                       // 0000000084AC: 807C3080
	s_waitcnt vmcnt(18)                                        // 0000000084B0: BF8C4F72
	v_mfma_f32_16x16x32_fp8_fp8 v[120:123], a[152:153], a[72:73], v[120:123]// 0000000084B4: D3F30078 1DE29198
	buffer_load_dwordx4 a[144:147], v82, s[24:27], 0 offen     // 0000000084BC: E05C1000 80869052
	v_mfma_f32_16x16x32_fp8_fp8 v[120:123], a[154:155], a[74:75], v[120:123]// 0000000084C4: D3F30078 1DE2959A
	v_mfma_f32_16x16x32_fp8_fp8 v[120:123], a[156:157], a[76:77], v[120:123]// 0000000084CC: D3F30078 1DE2999C
	ds_read_b128 a[0:3], v2                                    // 0000000084D4: DBFE0000 00000002
	ds_read_b128 a[4:7], v2 offset:64                          // 0000000084DC: DBFE0040 04000002
	v_mfma_f32_16x16x32_fp8_fp8 v[120:123], a[158:159], a[78:79], v[120:123]// 0000000084E4: D3F30078 1DE29D9E
	v_mfma_f32_16x16x32_fp8_fp8 v[124:127], a[152:153], a[80:81], v[124:127]// 0000000084EC: D3F3007C 1DF2A198
	buffer_load_dwordx4 a[148:151], v82, s[24:27], 0 offen offset:1024// 0000000084F4: E05C1400 80869452
	v_mfma_f32_16x16x32_fp8_fp8 v[124:127], a[154:155], a[82:83], v[124:127]// 0000000084FC: D3F3007C 1DF2A59A
	v_mfma_f32_16x16x32_fp8_fp8 v[124:127], a[156:157], a[84:85], v[124:127]// 000000008504: D3F3007C 1DF2A99C
	ds_read_b128 a[8:11], v2 offset:512                        // 00000000850C: DBFE0200 08000002
	ds_read_b128 a[12:15], v2 offset:576                       // 000000008514: DBFE0240 0C000002
	v_mfma_f32_16x16x32_fp8_fp8 v[124:127], a[158:159], a[86:87], v[124:127]// 00000000851C: D3F3007C 1DF2AD9E
	v_mfma_f32_16x16x32_fp8_fp8 v[128:131], a[152:153], a[88:89], v[128:131]// 000000008524: D3F30080 1E02B198
	v_mfma_f32_16x16x32_fp8_fp8 v[128:131], a[154:155], a[90:91], v[128:131]// 00000000852C: D3F30080 1E02B59A
	v_mfma_f32_16x16x32_fp8_fp8 v[128:131], a[156:157], a[92:93], v[128:131]// 000000008534: D3F30080 1E02B99C
	ds_read_b128 a[16:19], v2 offset:1024                      // 00000000853C: DBFE0400 10000002
	ds_read_b128 a[20:23], v2 offset:1088                      // 000000008544: DBFE0440 14000002
	v_mfma_f32_16x16x32_fp8_fp8 v[128:131], a[158:159], a[94:95], v[128:131]// 00000000854C: D3F30080 1E02BD9E
	v_mfma_f32_16x16x32_fp8_fp8 v[132:135], a[152:153], a[96:97], v[132:135]// 000000008554: D3F30084 1E12C198
	v_mfma_f32_16x16x32_fp8_fp8 v[132:135], a[154:155], a[98:99], v[132:135]// 00000000855C: D3F30084 1E12C59A
	v_mfma_f32_16x16x32_fp8_fp8 v[132:135], a[156:157], a[100:101], v[132:135]// 000000008564: D3F30084 1E12C99C
	ds_read_b128 a[24:27], v2 offset:1536                      // 00000000856C: DBFE0600 18000002
	ds_read_b128 a[28:31], v2 offset:1600                      // 000000008574: DBFE0640 1C000002
	v_mfma_f32_16x16x32_fp8_fp8 v[132:135], a[158:159], a[102:103], v[132:135]// 00000000857C: D3F30084 1E12CD9E
	v_mfma_f32_16x16x32_fp8_fp8 v[136:139], a[152:153], a[104:105], v[136:139]// 000000008584: D3F30088 1E22D198
	v_mfma_f32_16x16x32_fp8_fp8 v[136:139], a[154:155], a[106:107], v[136:139]// 00000000858C: D3F30088 1E22D59A
	v_mfma_f32_16x16x32_fp8_fp8 v[136:139], a[156:157], a[108:109], v[136:139]// 000000008594: D3F30088 1E22D99C
	ds_read_b128 a[32:35], v2 offset:2048                      // 00000000859C: DBFE0800 20000002
	ds_read_b128 a[36:39], v2 offset:2112                      // 0000000085A4: DBFE0840 24000002
	v_mfma_f32_16x16x32_fp8_fp8 v[136:139], a[158:159], a[110:111], v[136:139]// 0000000085AC: D3F30088 1E22DD9E
	v_mfma_f32_16x16x32_fp8_fp8 v[140:143], a[152:153], a[112:113], v[140:143]// 0000000085B4: D3F3008C 1E32E198
	v_mfma_f32_16x16x32_fp8_fp8 v[140:143], a[154:155], a[114:115], v[140:143]// 0000000085BC: D3F3008C 1E32E59A
	v_mfma_f32_16x16x32_fp8_fp8 v[140:143], a[156:157], a[116:117], v[140:143]// 0000000085C4: D3F3008C 1E32E99C
	ds_read_b128 a[40:43], v2 offset:2560                      // 0000000085CC: DBFE0A00 28000002
	ds_read_b128 a[44:47], v2 offset:2624                      // 0000000085D4: DBFE0A40 2C000002
	v_mfma_f32_16x16x32_fp8_fp8 v[140:143], a[158:159], a[118:119], v[140:143]// 0000000085DC: D3F3008C 1E32ED9E
	v_mfma_f32_16x16x32_fp8_fp8 v[144:147], a[152:153], a[120:121], v[144:147]// 0000000085E4: D3F30090 1E42F198
	v_mfma_f32_16x16x32_fp8_fp8 v[144:147], a[154:155], a[122:123], v[144:147]// 0000000085EC: D3F30090 1E42F59A
	v_mfma_f32_16x16x32_fp8_fp8 v[144:147], a[156:157], a[124:125], v[144:147]// 0000000085F4: D3F30090 1E42F99C
	ds_read_b128 a[48:51], v2 offset:3072                      // 0000000085FC: DBFE0C00 30000002
	ds_read_b128 a[52:55], v2 offset:3136                      // 000000008604: DBFE0C40 34000002
	v_mfma_f32_16x16x32_fp8_fp8 v[144:147], a[158:159], a[126:127], v[144:147]// 00000000860C: D3F30090 1E42FD9E
	v_mfma_f32_16x16x32_fp8_fp8 v[148:151], a[152:153], a[128:129], v[148:151]// 000000008614: D3F30094 1E530198
	v_mfma_f32_16x16x32_fp8_fp8 v[148:151], a[154:155], a[130:131], v[148:151]// 00000000861C: D3F30094 1E53059A
	v_mfma_f32_16x16x32_fp8_fp8 v[148:151], a[156:157], a[132:133], v[148:151]// 000000008624: D3F30094 1E53099C
	ds_read_b128 a[56:59], v2 offset:3584                      // 00000000862C: DBFE0E00 38000002
	ds_read_b128 a[60:63], v2 offset:3648                      // 000000008634: DBFE0E40 3C000002
	s_add_u32 s60, 0x180, s80                                  // 00000000863C: 803C50FF 00000180
	s_cmp_lt_u32 s60, s81                                      // 000000008644: BF0A513C
	s_cselect_b32 s57, s57, 0                                  // 000000008648: 85398039
	v_mfma_f32_16x16x32_fp8_fp8 v[148:151], a[158:159], a[134:135], v[148:151]// 00000000864C: D3F30094 1E530D9E
	s_add_u32 s60, 0x100, s80                                  // 000000008654: 803C50FF 00000100
	s_cmp_lt_u32 s60, s81                                      // 00000000865C: BF0A513C
	s_cselect_b32 s58, s58, 0                                  // 000000008660: 853A803A
	v_mfma_f32_16x16x32_fp8_fp8 v[152:155], a[152:153], a[136:137], v[152:155]// 000000008664: D3F30098 1E631198
	s_add_u32 s24, s58, s24                                    // 00000000866C: 8018183A
	s_addc_u32 s25, 0, s25                                     // 000000008670: 82191980
	v_mfma_f32_16x16x32_fp8_fp8 v[152:155], a[154:155], a[138:139], v[152:155]// 000000008674: D3F30098 1E63159A
	s_add_u32 s20, s57, s20                                    // 00000000867C: 80141439
	s_addc_u32 s21, 0, s21                                     // 000000008680: 82151580
	v_mfma_f32_16x16x32_fp8_fp8 v[152:155], a[156:157], a[140:141], v[152:155]// 000000008684: D3F30098 1E63199C
	ds_read_b128 a[64:67], v2 offset:4096                      // 00000000868C: DBFE1000 40000002
	ds_read_b128 a[68:71], v2 offset:4160                      // 000000008694: DBFE1040 44000002
	s_add_u32 s84, s83, s84                                    // 00000000869C: 80545453
	s_addc_u32 s85, 0, s85                                     // 0000000086A0: 82555580
	v_mfma_f32_16x16x32_fp8_fp8 v[152:155], a[158:159], a[142:143], v[152:155]// 0000000086A4: D3F30098 1E631D9E
	s_addk_i32 s80, 0x80                                       // 0000000086AC: B7500080
	s_cmp_lt_i32 s80, s81                                      // 0000000086B0: BF045150
	s_cbranch_scc0 label_1732                                  // 0000000086B4: BF840001
	s_branch label_14FB                                        // 0000000086B8: BF82FDC9

00000000000086bc <label_1732>:
	v_mul_f32_dpp v84, v24, v84 row_newbcast:0 row_mask:0xf bank_mask:0xf// 0000000086BC: 0AA8A8FA FF015018
	v_mul_f32_dpp v85, v24, v85 row_newbcast:1 row_mask:0xf bank_mask:0xf// 0000000086C4: 0AAAAAFA FF015118
	v_mul_f32_dpp v86, v24, v86 row_newbcast:2 row_mask:0xf bank_mask:0xf// 0000000086CC: 0AACACFA FF015218
	v_mul_f32_dpp v87, v24, v87 row_newbcast:3 row_mask:0xf bank_mask:0xf// 0000000086D4: 0AAEAEFA FF015318
	v_mul_f32_dpp v88, v24, v88 row_newbcast:0 row_mask:0xf bank_mask:0xf// 0000000086DC: 0AB0B0FA FF015018
	v_mul_f32_dpp v89, v24, v89 row_newbcast:1 row_mask:0xf bank_mask:0xf// 0000000086E4: 0AB2B2FA FF015118
	v_mul_f32_dpp v90, v24, v90 row_newbcast:2 row_mask:0xf bank_mask:0xf// 0000000086EC: 0AB4B4FA FF015218
	v_mul_f32_dpp v91, v24, v91 row_newbcast:3 row_mask:0xf bank_mask:0xf// 0000000086F4: 0AB6B6FA FF015318
	v_mul_f32_dpp v92, v24, v92 row_newbcast:0 row_mask:0xf bank_mask:0xf// 0000000086FC: 0AB8B8FA FF015018
	v_mul_f32_dpp v93, v24, v93 row_newbcast:1 row_mask:0xf bank_mask:0xf// 000000008704: 0ABABAFA FF015118
	v_mul_f32_dpp v94, v24, v94 row_newbcast:2 row_mask:0xf bank_mask:0xf// 00000000870C: 0ABCBCFA FF015218
	v_mul_f32_dpp v95, v24, v95 row_newbcast:3 row_mask:0xf bank_mask:0xf// 000000008714: 0ABEBEFA FF015318
	v_mul_f32_dpp v96, v24, v96 row_newbcast:0 row_mask:0xf bank_mask:0xf// 00000000871C: 0AC0C0FA FF015018
	v_mul_f32_dpp v97, v24, v97 row_newbcast:1 row_mask:0xf bank_mask:0xf// 000000008724: 0AC2C2FA FF015118
	v_mul_f32_dpp v98, v24, v98 row_newbcast:2 row_mask:0xf bank_mask:0xf// 00000000872C: 0AC4C4FA FF015218
	v_mul_f32_dpp v99, v24, v99 row_newbcast:3 row_mask:0xf bank_mask:0xf// 000000008734: 0AC6C6FA FF015318
	v_mul_f32_dpp v100, v24, v100 row_newbcast:0 row_mask:0xf bank_mask:0xf// 00000000873C: 0AC8C8FA FF015018
	v_mul_f32_dpp v101, v24, v101 row_newbcast:1 row_mask:0xf bank_mask:0xf// 000000008744: 0ACACAFA FF015118
	v_mul_f32_dpp v102, v24, v102 row_newbcast:2 row_mask:0xf bank_mask:0xf// 00000000874C: 0ACCCCFA FF015218
	v_mul_f32_dpp v103, v24, v103 row_newbcast:3 row_mask:0xf bank_mask:0xf// 000000008754: 0ACECEFA FF015318
	v_mul_f32_dpp v104, v24, v104 row_newbcast:0 row_mask:0xf bank_mask:0xf// 00000000875C: 0AD0D0FA FF015018
	v_mul_f32_dpp v105, v24, v105 row_newbcast:1 row_mask:0xf bank_mask:0xf// 000000008764: 0AD2D2FA FF015118
	v_mul_f32_dpp v106, v24, v106 row_newbcast:2 row_mask:0xf bank_mask:0xf// 00000000876C: 0AD4D4FA FF015218
	v_mul_f32_dpp v107, v24, v107 row_newbcast:3 row_mask:0xf bank_mask:0xf// 000000008774: 0AD6D6FA FF015318
	v_mul_f32_dpp v108, v24, v108 row_newbcast:0 row_mask:0xf bank_mask:0xf// 00000000877C: 0AD8D8FA FF015018
	v_mul_f32_dpp v109, v24, v109 row_newbcast:1 row_mask:0xf bank_mask:0xf// 000000008784: 0ADADAFA FF015118
	v_mul_f32_dpp v110, v24, v110 row_newbcast:2 row_mask:0xf bank_mask:0xf// 00000000878C: 0ADCDCFA FF015218
	v_mul_f32_dpp v111, v24, v111 row_newbcast:3 row_mask:0xf bank_mask:0xf// 000000008794: 0ADEDEFA FF015318
	v_mul_f32_dpp v112, v24, v112 row_newbcast:0 row_mask:0xf bank_mask:0xf// 00000000879C: 0AE0E0FA FF015018
	v_mul_f32_dpp v113, v24, v113 row_newbcast:1 row_mask:0xf bank_mask:0xf// 0000000087A4: 0AE2E2FA FF015118
	v_mul_f32_dpp v114, v24, v114 row_newbcast:2 row_mask:0xf bank_mask:0xf// 0000000087AC: 0AE4E4FA FF015218
	v_mul_f32_dpp v115, v24, v115 row_newbcast:3 row_mask:0xf bank_mask:0xf// 0000000087B4: 0AE6E6FA FF015318
	v_mul_f32_dpp v116, v24, v116 row_newbcast:0 row_mask:0xf bank_mask:0xf// 0000000087BC: 0AE8E8FA FF015018
	v_mul_f32_dpp v117, v24, v117 row_newbcast:1 row_mask:0xf bank_mask:0xf// 0000000087C4: 0AEAEAFA FF015118
	v_mul_f32_dpp v118, v24, v118 row_newbcast:2 row_mask:0xf bank_mask:0xf// 0000000087CC: 0AECECFA FF015218
	v_mul_f32_dpp v119, v24, v119 row_newbcast:3 row_mask:0xf bank_mask:0xf// 0000000087D4: 0AEEEEFA FF015318
	v_mul_f32_dpp v120, v26, v120 row_newbcast:0 row_mask:0xf bank_mask:0xf// 0000000087DC: 0AF0F0FA FF01501A
	v_mul_f32_dpp v121, v26, v121 row_newbcast:1 row_mask:0xf bank_mask:0xf// 0000000087E4: 0AF2F2FA FF01511A
	v_mul_f32_dpp v122, v26, v122 row_newbcast:2 row_mask:0xf bank_mask:0xf// 0000000087EC: 0AF4F4FA FF01521A
	v_mul_f32_dpp v123, v26, v123 row_newbcast:3 row_mask:0xf bank_mask:0xf// 0000000087F4: 0AF6F6FA FF01531A
	v_mul_f32_dpp v124, v26, v124 row_newbcast:0 row_mask:0xf bank_mask:0xf// 0000000087FC: 0AF8F8FA FF01501A
	v_mul_f32_dpp v125, v26, v125 row_newbcast:1 row_mask:0xf bank_mask:0xf// 000000008804: 0AFAFAFA FF01511A
	v_mul_f32_dpp v126, v26, v126 row_newbcast:2 row_mask:0xf bank_mask:0xf// 00000000880C: 0AFCFCFA FF01521A
	v_mul_f32_dpp v127, v26, v127 row_newbcast:3 row_mask:0xf bank_mask:0xf// 000000008814: 0AFEFEFA FF01531A
	v_mul_f32_dpp v128, v26, v128 row_newbcast:0 row_mask:0xf bank_mask:0xf// 00000000881C: 0B0100FA FF01501A
	v_mul_f32_dpp v129, v26, v129 row_newbcast:1 row_mask:0xf bank_mask:0xf// 000000008824: 0B0302FA FF01511A
	v_mul_f32_dpp v130, v26, v130 row_newbcast:2 row_mask:0xf bank_mask:0xf// 00000000882C: 0B0504FA FF01521A
	v_mul_f32_dpp v131, v26, v131 row_newbcast:3 row_mask:0xf bank_mask:0xf// 000000008834: 0B0706FA FF01531A
	v_mul_f32_dpp v132, v26, v132 row_newbcast:0 row_mask:0xf bank_mask:0xf// 00000000883C: 0B0908FA FF01501A
	v_mul_f32_dpp v133, v26, v133 row_newbcast:1 row_mask:0xf bank_mask:0xf// 000000008844: 0B0B0AFA FF01511A
	v_mul_f32_dpp v134, v26, v134 row_newbcast:2 row_mask:0xf bank_mask:0xf// 00000000884C: 0B0D0CFA FF01521A
	v_mul_f32_dpp v135, v26, v135 row_newbcast:3 row_mask:0xf bank_mask:0xf// 000000008854: 0B0F0EFA FF01531A
	v_mul_f32_dpp v136, v26, v136 row_newbcast:0 row_mask:0xf bank_mask:0xf// 00000000885C: 0B1110FA FF01501A
	v_mul_f32_dpp v137, v26, v137 row_newbcast:1 row_mask:0xf bank_mask:0xf// 000000008864: 0B1312FA FF01511A
	v_mul_f32_dpp v138, v26, v138 row_newbcast:2 row_mask:0xf bank_mask:0xf// 00000000886C: 0B1514FA FF01521A
	v_mul_f32_dpp v139, v26, v139 row_newbcast:3 row_mask:0xf bank_mask:0xf// 000000008874: 0B1716FA FF01531A
	v_mul_f32_dpp v140, v26, v140 row_newbcast:0 row_mask:0xf bank_mask:0xf// 00000000887C: 0B1918FA FF01501A
	v_mul_f32_dpp v141, v26, v141 row_newbcast:1 row_mask:0xf bank_mask:0xf// 000000008884: 0B1B1AFA FF01511A
	v_mul_f32_dpp v142, v26, v142 row_newbcast:2 row_mask:0xf bank_mask:0xf// 00000000888C: 0B1D1CFA FF01521A
	v_mul_f32_dpp v143, v26, v143 row_newbcast:3 row_mask:0xf bank_mask:0xf// 000000008894: 0B1F1EFA FF01531A
	v_mul_f32_dpp v144, v26, v144 row_newbcast:0 row_mask:0xf bank_mask:0xf// 00000000889C: 0B2120FA FF01501A
	v_mul_f32_dpp v145, v26, v145 row_newbcast:1 row_mask:0xf bank_mask:0xf// 0000000088A4: 0B2322FA FF01511A
	v_mul_f32_dpp v146, v26, v146 row_newbcast:2 row_mask:0xf bank_mask:0xf// 0000000088AC: 0B2524FA FF01521A
	v_mul_f32_dpp v147, v26, v147 row_newbcast:3 row_mask:0xf bank_mask:0xf// 0000000088B4: 0B2726FA FF01531A
	v_mul_f32_dpp v148, v26, v148 row_newbcast:0 row_mask:0xf bank_mask:0xf// 0000000088BC: 0B2928FA FF01501A
	v_mul_f32_dpp v149, v26, v149 row_newbcast:1 row_mask:0xf bank_mask:0xf// 0000000088C4: 0B2B2AFA FF01511A
	v_mul_f32_dpp v150, v26, v150 row_newbcast:2 row_mask:0xf bank_mask:0xf// 0000000088CC: 0B2D2CFA FF01521A
	v_mul_f32_dpp v151, v26, v151 row_newbcast:3 row_mask:0xf bank_mask:0xf// 0000000088D4: 0B2F2EFA FF01531A
	v_mul_f32_dpp v152, v26, v152 row_newbcast:0 row_mask:0xf bank_mask:0xf// 0000000088DC: 0B3130FA FF01501A
	v_mul_f32_dpp v153, v26, v153 row_newbcast:1 row_mask:0xf bank_mask:0xf// 0000000088E4: 0B3332FA FF01511A
	v_mul_f32_dpp v154, v26, v154 row_newbcast:2 row_mask:0xf bank_mask:0xf// 0000000088EC: 0B3534FA FF01521A
	v_mul_f32_dpp v155, v26, v155 row_newbcast:3 row_mask:0xf bank_mask:0xf// 0000000088F4: 0B3736FA FF01531A
	v_mov_b32_e32 v4, v37                                      // 0000000088FC: 7E080325
	v_mov_b32_e32 v5, v4                                       // 000000008900: 7E0A0304
	v_pk_mul_f32 v[84:85], v[4:5], v[84:85]                    // 000000008904: D3B14054 1802A904
	v_pk_mul_f32 v[120:121], v[4:5], v[120:121]                // 00000000890C: D3B14078 1802F104
	v_pk_mul_f32 v[86:87], v[4:5], v[86:87]                    // 000000008914: D3B14056 1802AD04
	v_pk_mul_f32 v[122:123], v[4:5], v[122:123]                // 00000000891C: D3B1407A 1802F504
	v_mov_b32_e32 v4, v38                                      // 000000008924: 7E080326
	v_mov_b32_e32 v5, v4                                       // 000000008928: 7E0A0304
	v_pk_mul_f32 v[88:89], v[4:5], v[88:89]                    // 00000000892C: D3B14058 1802B104
	v_pk_mul_f32 v[124:125], v[4:5], v[124:125]                // 000000008934: D3B1407C 1802F904
	v_pk_mul_f32 v[90:91], v[4:5], v[90:91]                    // 00000000893C: D3B1405A 1802B504
	v_pk_mul_f32 v[126:127], v[4:5], v[126:127]                // 000000008944: D3B1407E 1802FD04
	v_mov_b32_e32 v4, v39                                      // 00000000894C: 7E080327
	v_mov_b32_e32 v5, v4                                       // 000000008950: 7E0A0304
	v_pk_mul_f32 v[92:93], v[4:5], v[92:93]                    // 000000008954: D3B1405C 1802B904
	v_pk_mul_f32 v[128:129], v[4:5], v[128:129]                // 00000000895C: D3B14080 18030104
	v_pk_mul_f32 v[94:95], v[4:5], v[94:95]                    // 000000008964: D3B1405E 1802BD04
	v_pk_mul_f32 v[130:131], v[4:5], v[130:131]                // 00000000896C: D3B14082 18030504
	v_mov_b32_e32 v4, v40                                      // 000000008974: 7E080328
	v_mov_b32_e32 v5, v4                                       // 000000008978: 7E0A0304
	v_pk_mul_f32 v[96:97], v[4:5], v[96:97]                    // 00000000897C: D3B14060 1802C104
	v_pk_mul_f32 v[132:133], v[4:5], v[132:133]                // 000000008984: D3B14084 18030904
	v_pk_mul_f32 v[98:99], v[4:5], v[98:99]                    // 00000000898C: D3B14062 1802C504
	v_pk_mul_f32 v[134:135], v[4:5], v[134:135]                // 000000008994: D3B14086 18030D04
	v_mov_b32_e32 v4, v41                                      // 00000000899C: 7E080329
	v_mov_b32_e32 v5, v4                                       // 0000000089A0: 7E0A0304
	v_pk_mul_f32 v[100:101], v[4:5], v[100:101]                // 0000000089A4: D3B14064 1802C904
	v_pk_mul_f32 v[136:137], v[4:5], v[136:137]                // 0000000089AC: D3B14088 18031104
	v_pk_mul_f32 v[102:103], v[4:5], v[102:103]                // 0000000089B4: D3B14066 1802CD04
	v_pk_mul_f32 v[138:139], v[4:5], v[138:139]                // 0000000089BC: D3B1408A 18031504
	v_mov_b32_e32 v4, v42                                      // 0000000089C4: 7E08032A
	v_mov_b32_e32 v5, v4                                       // 0000000089C8: 7E0A0304
	v_pk_mul_f32 v[104:105], v[4:5], v[104:105]                // 0000000089CC: D3B14068 1802D104
	v_pk_mul_f32 v[140:141], v[4:5], v[140:141]                // 0000000089D4: D3B1408C 18031904
	v_pk_mul_f32 v[106:107], v[4:5], v[106:107]                // 0000000089DC: D3B1406A 1802D504
	v_pk_mul_f32 v[142:143], v[4:5], v[142:143]                // 0000000089E4: D3B1408E 18031D04
	v_mov_b32_e32 v4, v43                                      // 0000000089EC: 7E08032B
	v_mov_b32_e32 v5, v4                                       // 0000000089F0: 7E0A0304
	v_pk_mul_f32 v[108:109], v[4:5], v[108:109]                // 0000000089F4: D3B1406C 1802D904
	v_pk_mul_f32 v[144:145], v[4:5], v[144:145]                // 0000000089FC: D3B14090 18032104
	v_pk_mul_f32 v[110:111], v[4:5], v[110:111]                // 000000008A04: D3B1406E 1802DD04
	v_pk_mul_f32 v[146:147], v[4:5], v[146:147]                // 000000008A0C: D3B14092 18032504
	v_mov_b32_e32 v4, v44                                      // 000000008A14: 7E08032C
	v_mov_b32_e32 v5, v4                                       // 000000008A18: 7E0A0304
	v_pk_mul_f32 v[112:113], v[4:5], v[112:113]                // 000000008A1C: D3B14070 1802E104
	v_pk_mul_f32 v[148:149], v[4:5], v[148:149]                // 000000008A24: D3B14094 18032904
	v_pk_mul_f32 v[114:115], v[4:5], v[114:115]                // 000000008A2C: D3B14072 1802E504
	v_pk_mul_f32 v[150:151], v[4:5], v[150:151]                // 000000008A34: D3B14096 18032D04
	v_mov_b32_e32 v4, v45                                      // 000000008A3C: 7E08032D
	v_mov_b32_e32 v5, v4                                       // 000000008A40: 7E0A0304
	v_pk_mul_f32 v[116:117], v[4:5], v[116:117]                // 000000008A44: D3B14074 1802E904
	v_pk_mul_f32 v[152:153], v[4:5], v[152:153]                // 000000008A4C: D3B14098 18033104
	v_pk_mul_f32 v[118:119], v[4:5], v[118:119]                // 000000008A54: D3B14076 1802ED04
	v_pk_mul_f32 v[154:155], v[4:5], v[154:155]                // 000000008A5C: D3B1409A 18033504
	s_cmp_eq_u32 s88, 0                                        // 000000008A64: BF068058
	s_cbranch_scc0 label_1EC9                                  // 000000008A68: BF8406AB
	s_cmp_eq_u32 s89, 0                                        // 000000008A6C: BF068059
	s_cbranch_scc1 label_198D                                  // 000000008A70: BF85016D
	v_mov_b32_e32 v8, v1                                       // 000000008A74: 7E100301
	v_mov_b32_e32 v9, v1                                       // 000000008A78: 7E120301
	s_mov_b32 s60, s6                                          // 000000008A7C: BEBC0006
	s_mov_b32 s61, s6                                          // 000000008A80: BEBD0006
	v_pk_mul_f32 v[4:5], v[84:85], v[84:85]                    // 000000008A84: D3B14004 1802A954
	v_pk_mul_f32 v[6:7], v[86:87], v[86:87]                    // 000000008A8C: D3B14006 1802AD56
	v_pk_fma_f32 v[4:5], v[4:5], s[78:79], v[8:9]              // 000000008A94: D3B04004 1C209D04
	v_pk_fma_f32 v[6:7], v[6:7], s[78:79], v[8:9]              // 000000008A9C: D3B04006 1C209D06
	v_pk_mul_f32 v[4:5], v[4:5], v[84:85]                      // 000000008AA4: D3B14004 1802A904
	v_pk_mul_f32 v[6:7], v[6:7], v[86:87]                      // 000000008AAC: D3B14006 1802AD06
	v_pk_mul_f32 v[4:5], v[4:5], s[60:61]                      // 000000008AB4: D3B14004 18007904
	v_pk_mul_f32 v[6:7], v[6:7], s[60:61]                      // 000000008ABC: D3B14006 18007906
	v_exp_f32_e32 v4, v4                                       // 000000008AC4: 7E084104
	v_exp_f32_e32 v5, v5                                       // 000000008AC8: 7E0A4105
	v_exp_f32_e32 v6, v6                                       // 000000008ACC: 7E0C4106
	v_exp_f32_e32 v7, v7                                       // 000000008AD0: 7E0E4107
	v_add_f32_e64 v4, v4, 1.0                                  // 000000008AD4: D1010004 0001E504
	v_add_f32_e64 v5, v5, 1.0                                  // 000000008ADC: D1010005 0001E505
	v_add_f32_e64 v6, v6, 1.0                                  // 000000008AE4: D1010006 0001E506
	v_add_f32_e64 v7, v7, 1.0                                  // 000000008AEC: D1010007 0001E507
	v_rcp_f32_e32 v4, v4                                       // 000000008AF4: 7E084504
	v_rcp_f32_e32 v5, v5                                       // 000000008AF8: 7E0A4505
	v_rcp_f32_e32 v6, v6                                       // 000000008AFC: 7E0C4506
	v_rcp_f32_e32 v7, v7                                       // 000000008B00: 7E0E4507
	v_mul_f32_e32 v84, v84, v4                                 // 000000008B04: 0AA80954
	v_mul_f32_e32 v85, v85, v5                                 // 000000008B08: 0AAA0B55
	v_mul_f32_e32 v86, v86, v6                                 // 000000008B0C: 0AAC0D56
	v_mul_f32_e32 v87, v87, v7                                 // 000000008B10: 0AAE0F57
	v_mul_f32_e32 v84, v84, v120                               // 000000008B14: 0AA8F154
	v_mul_f32_e32 v85, v85, v121                               // 000000008B18: 0AAAF355
	v_mul_f32_e32 v86, v86, v122                               // 000000008B1C: 0AACF556
	v_mul_f32_e32 v87, v87, v123                               // 000000008B20: 0AAEF757
	v_pk_mul_f32 v[4:5], v[88:89], v[88:89]                    // 000000008B24: D3B14004 1802B158
	v_pk_mul_f32 v[6:7], v[90:91], v[90:91]                    // 000000008B2C: D3B14006 1802B55A
	v_pk_fma_f32 v[4:5], v[4:5], s[78:79], v[8:9]              // 000000008B34: D3B04004 1C209D04
	v_pk_fma_f32 v[6:7], v[6:7], s[78:79], v[8:9]              // 000000008B3C: D3B04006 1C209D06
	v_pk_mul_f32 v[4:5], v[4:5], v[88:89]                      // 000000008B44: D3B14004 1802B104
	v_pk_mul_f32 v[6:7], v[6:7], v[90:91]                      // 000000008B4C: D3B14006 1802B506
	v_pk_mul_f32 v[4:5], v[4:5], s[60:61]                      // 000000008B54: D3B14004 18007904
	v_pk_mul_f32 v[6:7], v[6:7], s[60:61]                      // 000000008B5C: D3B14006 18007906
	v_exp_f32_e32 v4, v4                                       // 000000008B64: 7E084104
	v_exp_f32_e32 v5, v5                                       // 000000008B68: 7E0A4105
	v_exp_f32_e32 v6, v6                                       // 000000008B6C: 7E0C4106
	v_exp_f32_e32 v7, v7                                       // 000000008B70: 7E0E4107
	v_add_f32_e64 v4, v4, 1.0                                  // 000000008B74: D1010004 0001E504
	v_add_f32_e64 v5, v5, 1.0                                  // 000000008B7C: D1010005 0001E505
	v_add_f32_e64 v6, v6, 1.0                                  // 000000008B84: D1010006 0001E506
	v_add_f32_e64 v7, v7, 1.0                                  // 000000008B8C: D1010007 0001E507
	v_rcp_f32_e32 v4, v4                                       // 000000008B94: 7E084504
	v_rcp_f32_e32 v5, v5                                       // 000000008B98: 7E0A4505
	v_rcp_f32_e32 v6, v6                                       // 000000008B9C: 7E0C4506
	v_rcp_f32_e32 v7, v7                                       // 000000008BA0: 7E0E4507
	v_mul_f32_e32 v88, v88, v4                                 // 000000008BA4: 0AB00958
	v_mul_f32_e32 v89, v89, v5                                 // 000000008BA8: 0AB20B59
	v_mul_f32_e32 v90, v90, v6                                 // 000000008BAC: 0AB40D5A
	v_mul_f32_e32 v91, v91, v7                                 // 000000008BB0: 0AB60F5B
	v_mul_f32_e32 v88, v88, v124                               // 000000008BB4: 0AB0F958
	v_mul_f32_e32 v89, v89, v125                               // 000000008BB8: 0AB2FB59
	v_mul_f32_e32 v90, v90, v126                               // 000000008BBC: 0AB4FD5A
	v_mul_f32_e32 v91, v91, v127                               // 000000008BC0: 0AB6FF5B
	v_pk_mul_f32 v[4:5], v[92:93], v[92:93]                    // 000000008BC4: D3B14004 1802B95C
	v_pk_mul_f32 v[6:7], v[94:95], v[94:95]                    // 000000008BCC: D3B14006 1802BD5E
	v_pk_fma_f32 v[4:5], v[4:5], s[78:79], v[8:9]              // 000000008BD4: D3B04004 1C209D04
	v_pk_fma_f32 v[6:7], v[6:7], s[78:79], v[8:9]              // 000000008BDC: D3B04006 1C209D06
	v_pk_mul_f32 v[4:5], v[4:5], v[92:93]                      // 000000008BE4: D3B14004 1802B904
	v_pk_mul_f32 v[6:7], v[6:7], v[94:95]                      // 000000008BEC: D3B14006 1802BD06
	v_pk_mul_f32 v[4:5], v[4:5], s[60:61]                      // 000000008BF4: D3B14004 18007904
	v_pk_mul_f32 v[6:7], v[6:7], s[60:61]                      // 000000008BFC: D3B14006 18007906
	v_exp_f32_e32 v4, v4                                       // 000000008C04: 7E084104
	v_exp_f32_e32 v5, v5                                       // 000000008C08: 7E0A4105
	v_exp_f32_e32 v6, v6                                       // 000000008C0C: 7E0C4106
	v_exp_f32_e32 v7, v7                                       // 000000008C10: 7E0E4107
	v_add_f32_e64 v4, v4, 1.0                                  // 000000008C14: D1010004 0001E504
	v_add_f32_e64 v5, v5, 1.0                                  // 000000008C1C: D1010005 0001E505
	v_add_f32_e64 v6, v6, 1.0                                  // 000000008C24: D1010006 0001E506
	v_add_f32_e64 v7, v7, 1.0                                  // 000000008C2C: D1010007 0001E507
	v_rcp_f32_e32 v4, v4                                       // 000000008C34: 7E084504
	v_rcp_f32_e32 v5, v5                                       // 000000008C38: 7E0A4505
	v_rcp_f32_e32 v6, v6                                       // 000000008C3C: 7E0C4506
	v_rcp_f32_e32 v7, v7                                       // 000000008C40: 7E0E4507
	v_mul_f32_e32 v92, v92, v4                                 // 000000008C44: 0AB8095C
	v_mul_f32_e32 v93, v93, v5                                 // 000000008C48: 0ABA0B5D
	v_mul_f32_e32 v94, v94, v6                                 // 000000008C4C: 0ABC0D5E
	v_mul_f32_e32 v95, v95, v7                                 // 000000008C50: 0ABE0F5F
	v_mul_f32_e32 v92, v92, v128                               // 000000008C54: 0AB9015C
	v_mul_f32_e32 v93, v93, v129                               // 000000008C58: 0ABB035D
	v_mul_f32_e32 v94, v94, v130                               // 000000008C5C: 0ABD055E
	v_mul_f32_e32 v95, v95, v131                               // 000000008C60: 0ABF075F
	v_pk_mul_f32 v[4:5], v[96:97], v[96:97]                    // 000000008C64: D3B14004 1802C160
	v_pk_mul_f32 v[6:7], v[98:99], v[98:99]                    // 000000008C6C: D3B14006 1802C562
	v_pk_fma_f32 v[4:5], v[4:5], s[78:79], v[8:9]              // 000000008C74: D3B04004 1C209D04
	v_pk_fma_f32 v[6:7], v[6:7], s[78:79], v[8:9]              // 000000008C7C: D3B04006 1C209D06
	v_pk_mul_f32 v[4:5], v[4:5], v[96:97]                      // 000000008C84: D3B14004 1802C104
	v_pk_mul_f32 v[6:7], v[6:7], v[98:99]                      // 000000008C8C: D3B14006 1802C506
	v_pk_mul_f32 v[4:5], v[4:5], s[60:61]                      // 000000008C94: D3B14004 18007904
	v_pk_mul_f32 v[6:7], v[6:7], s[60:61]                      // 000000008C9C: D3B14006 18007906
	v_exp_f32_e32 v4, v4                                       // 000000008CA4: 7E084104
	v_exp_f32_e32 v5, v5                                       // 000000008CA8: 7E0A4105
	v_exp_f32_e32 v6, v6                                       // 000000008CAC: 7E0C4106
	v_exp_f32_e32 v7, v7                                       // 000000008CB0: 7E0E4107
	v_add_f32_e64 v4, v4, 1.0                                  // 000000008CB4: D1010004 0001E504
	v_add_f32_e64 v5, v5, 1.0                                  // 000000008CBC: D1010005 0001E505
	v_add_f32_e64 v6, v6, 1.0                                  // 000000008CC4: D1010006 0001E506
	v_add_f32_e64 v7, v7, 1.0                                  // 000000008CCC: D1010007 0001E507
	v_rcp_f32_e32 v4, v4                                       // 000000008CD4: 7E084504
	v_rcp_f32_e32 v5, v5                                       // 000000008CD8: 7E0A4505
	v_rcp_f32_e32 v6, v6                                       // 000000008CDC: 7E0C4506
	v_rcp_f32_e32 v7, v7                                       // 000000008CE0: 7E0E4507
	v_mul_f32_e32 v96, v96, v4                                 // 000000008CE4: 0AC00960
	v_mul_f32_e32 v97, v97, v5                                 // 000000008CE8: 0AC20B61
	v_mul_f32_e32 v98, v98, v6                                 // 000000008CEC: 0AC40D62
	v_mul_f32_e32 v99, v99, v7                                 // 000000008CF0: 0AC60F63
	v_mul_f32_e32 v96, v96, v132                               // 000000008CF4: 0AC10960
	v_mul_f32_e32 v97, v97, v133                               // 000000008CF8: 0AC30B61
	v_mul_f32_e32 v98, v98, v134                               // 000000008CFC: 0AC50D62
	v_mul_f32_e32 v99, v99, v135                               // 000000008D00: 0AC70F63
	v_pk_mul_f32 v[4:5], v[100:101], v[100:101]                // 000000008D04: D3B14004 1802C964
	v_pk_mul_f32 v[6:7], v[102:103], v[102:103]                // 000000008D0C: D3B14006 1802CD66
	v_pk_fma_f32 v[4:5], v[4:5], s[78:79], v[8:9]              // 000000008D14: D3B04004 1C209D04
	v_pk_fma_f32 v[6:7], v[6:7], s[78:79], v[8:9]              // 000000008D1C: D3B04006 1C209D06
	v_pk_mul_f32 v[4:5], v[4:5], v[100:101]                    // 000000008D24: D3B14004 1802C904
	v_pk_mul_f32 v[6:7], v[6:7], v[102:103]                    // 000000008D2C: D3B14006 1802CD06
	v_pk_mul_f32 v[4:5], v[4:5], s[60:61]                      // 000000008D34: D3B14004 18007904
	v_pk_mul_f32 v[6:7], v[6:7], s[60:61]                      // 000000008D3C: D3B14006 18007906
	v_exp_f32_e32 v4, v4                                       // 000000008D44: 7E084104
	v_exp_f32_e32 v5, v5                                       // 000000008D48: 7E0A4105
	v_exp_f32_e32 v6, v6                                       // 000000008D4C: 7E0C4106
	v_exp_f32_e32 v7, v7                                       // 000000008D50: 7E0E4107
	v_add_f32_e64 v4, v4, 1.0                                  // 000000008D54: D1010004 0001E504
	v_add_f32_e64 v5, v5, 1.0                                  // 000000008D5C: D1010005 0001E505
	v_add_f32_e64 v6, v6, 1.0                                  // 000000008D64: D1010006 0001E506
	v_add_f32_e64 v7, v7, 1.0                                  // 000000008D6C: D1010007 0001E507
	v_rcp_f32_e32 v4, v4                                       // 000000008D74: 7E084504
	v_rcp_f32_e32 v5, v5                                       // 000000008D78: 7E0A4505
	v_rcp_f32_e32 v6, v6                                       // 000000008D7C: 7E0C4506
	v_rcp_f32_e32 v7, v7                                       // 000000008D80: 7E0E4507
	v_mul_f32_e32 v100, v100, v4                               // 000000008D84: 0AC80964
	v_mul_f32_e32 v101, v101, v5                               // 000000008D88: 0ACA0B65
	v_mul_f32_e32 v102, v102, v6                               // 000000008D8C: 0ACC0D66
	v_mul_f32_e32 v103, v103, v7                               // 000000008D90: 0ACE0F67
	v_mul_f32_e32 v100, v100, v136                             // 000000008D94: 0AC91164
	v_mul_f32_e32 v101, v101, v137                             // 000000008D98: 0ACB1365
	v_mul_f32_e32 v102, v102, v138                             // 000000008D9C: 0ACD1566
	v_mul_f32_e32 v103, v103, v139                             // 000000008DA0: 0ACF1767
	v_pk_mul_f32 v[4:5], v[104:105], v[104:105]                // 000000008DA4: D3B14004 1802D168
	v_pk_mul_f32 v[6:7], v[106:107], v[106:107]                // 000000008DAC: D3B14006 1802D56A
	v_pk_fma_f32 v[4:5], v[4:5], s[78:79], v[8:9]              // 000000008DB4: D3B04004 1C209D04
	v_pk_fma_f32 v[6:7], v[6:7], s[78:79], v[8:9]              // 000000008DBC: D3B04006 1C209D06
	v_pk_mul_f32 v[4:5], v[4:5], v[104:105]                    // 000000008DC4: D3B14004 1802D104
	v_pk_mul_f32 v[6:7], v[6:7], v[106:107]                    // 000000008DCC: D3B14006 1802D506
	v_pk_mul_f32 v[4:5], v[4:5], s[60:61]                      // 000000008DD4: D3B14004 18007904
	v_pk_mul_f32 v[6:7], v[6:7], s[60:61]                      // 000000008DDC: D3B14006 18007906
	v_exp_f32_e32 v4, v4                                       // 000000008DE4: 7E084104
	v_exp_f32_e32 v5, v5                                       // 000000008DE8: 7E0A4105
	v_exp_f32_e32 v6, v6                                       // 000000008DEC: 7E0C4106
	v_exp_f32_e32 v7, v7                                       // 000000008DF0: 7E0E4107
	v_add_f32_e64 v4, v4, 1.0                                  // 000000008DF4: D1010004 0001E504
	v_add_f32_e64 v5, v5, 1.0                                  // 000000008DFC: D1010005 0001E505
	v_add_f32_e64 v6, v6, 1.0                                  // 000000008E04: D1010006 0001E506
	v_add_f32_e64 v7, v7, 1.0                                  // 000000008E0C: D1010007 0001E507
	v_rcp_f32_e32 v4, v4                                       // 000000008E14: 7E084504
	v_rcp_f32_e32 v5, v5                                       // 000000008E18: 7E0A4505
	v_rcp_f32_e32 v6, v6                                       // 000000008E1C: 7E0C4506
	v_rcp_f32_e32 v7, v7                                       // 000000008E20: 7E0E4507
	v_mul_f32_e32 v104, v104, v4                               // 000000008E24: 0AD00968
	v_mul_f32_e32 v105, v105, v5                               // 000000008E28: 0AD20B69
	v_mul_f32_e32 v106, v106, v6                               // 000000008E2C: 0AD40D6A
	v_mul_f32_e32 v107, v107, v7                               // 000000008E30: 0AD60F6B
	v_mul_f32_e32 v104, v104, v140                             // 000000008E34: 0AD11968
	v_mul_f32_e32 v105, v105, v141                             // 000000008E38: 0AD31B69
	v_mul_f32_e32 v106, v106, v142                             // 000000008E3C: 0AD51D6A
	v_mul_f32_e32 v107, v107, v143                             // 000000008E40: 0AD71F6B
	v_pk_mul_f32 v[4:5], v[108:109], v[108:109]                // 000000008E44: D3B14004 1802D96C
	v_pk_mul_f32 v[6:7], v[110:111], v[110:111]                // 000000008E4C: D3B14006 1802DD6E
	v_pk_fma_f32 v[4:5], v[4:5], s[78:79], v[8:9]              // 000000008E54: D3B04004 1C209D04
	v_pk_fma_f32 v[6:7], v[6:7], s[78:79], v[8:9]              // 000000008E5C: D3B04006 1C209D06
	v_pk_mul_f32 v[4:5], v[4:5], v[108:109]                    // 000000008E64: D3B14004 1802D904
	v_pk_mul_f32 v[6:7], v[6:7], v[110:111]                    // 000000008E6C: D3B14006 1802DD06
	v_pk_mul_f32 v[4:5], v[4:5], s[60:61]                      // 000000008E74: D3B14004 18007904
	v_pk_mul_f32 v[6:7], v[6:7], s[60:61]                      // 000000008E7C: D3B14006 18007906
	v_exp_f32_e32 v4, v4                                       // 000000008E84: 7E084104
	v_exp_f32_e32 v5, v5                                       // 000000008E88: 7E0A4105
	v_exp_f32_e32 v6, v6                                       // 000000008E8C: 7E0C4106
	v_exp_f32_e32 v7, v7                                       // 000000008E90: 7E0E4107
	v_add_f32_e64 v4, v4, 1.0                                  // 000000008E94: D1010004 0001E504
	v_add_f32_e64 v5, v5, 1.0                                  // 000000008E9C: D1010005 0001E505
	v_add_f32_e64 v6, v6, 1.0                                  // 000000008EA4: D1010006 0001E506
	v_add_f32_e64 v7, v7, 1.0                                  // 000000008EAC: D1010007 0001E507
	v_rcp_f32_e32 v4, v4                                       // 000000008EB4: 7E084504
	v_rcp_f32_e32 v5, v5                                       // 000000008EB8: 7E0A4505
	v_rcp_f32_e32 v6, v6                                       // 000000008EBC: 7E0C4506
	v_rcp_f32_e32 v7, v7                                       // 000000008EC0: 7E0E4507
	v_mul_f32_e32 v108, v108, v4                               // 000000008EC4: 0AD8096C
	v_mul_f32_e32 v109, v109, v5                               // 000000008EC8: 0ADA0B6D
	v_mul_f32_e32 v110, v110, v6                               // 000000008ECC: 0ADC0D6E
	v_mul_f32_e32 v111, v111, v7                               // 000000008ED0: 0ADE0F6F
	v_mul_f32_e32 v108, v108, v144                             // 000000008ED4: 0AD9216C
	v_mul_f32_e32 v109, v109, v145                             // 000000008ED8: 0ADB236D
	v_mul_f32_e32 v110, v110, v146                             // 000000008EDC: 0ADD256E
	v_mul_f32_e32 v111, v111, v147                             // 000000008EE0: 0ADF276F
	v_pk_mul_f32 v[4:5], v[112:113], v[112:113]                // 000000008EE4: D3B14004 1802E170
	v_pk_mul_f32 v[6:7], v[114:115], v[114:115]                // 000000008EEC: D3B14006 1802E572
	v_pk_fma_f32 v[4:5], v[4:5], s[78:79], v[8:9]              // 000000008EF4: D3B04004 1C209D04
	v_pk_fma_f32 v[6:7], v[6:7], s[78:79], v[8:9]              // 000000008EFC: D3B04006 1C209D06
	v_pk_mul_f32 v[4:5], v[4:5], v[112:113]                    // 000000008F04: D3B14004 1802E104
	v_pk_mul_f32 v[6:7], v[6:7], v[114:115]                    // 000000008F0C: D3B14006 1802E506
	v_pk_mul_f32 v[4:5], v[4:5], s[60:61]                      // 000000008F14: D3B14004 18007904
	v_pk_mul_f32 v[6:7], v[6:7], s[60:61]                      // 000000008F1C: D3B14006 18007906
	v_exp_f32_e32 v4, v4                                       // 000000008F24: 7E084104
	v_exp_f32_e32 v5, v5                                       // 000000008F28: 7E0A4105
	v_exp_f32_e32 v6, v6                                       // 000000008F2C: 7E0C4106
	v_exp_f32_e32 v7, v7                                       // 000000008F30: 7E0E4107
	v_add_f32_e64 v4, v4, 1.0                                  // 000000008F34: D1010004 0001E504
	v_add_f32_e64 v5, v5, 1.0                                  // 000000008F3C: D1010005 0001E505
	v_add_f32_e64 v6, v6, 1.0                                  // 000000008F44: D1010006 0001E506
	v_add_f32_e64 v7, v7, 1.0                                  // 000000008F4C: D1010007 0001E507
	v_rcp_f32_e32 v4, v4                                       // 000000008F54: 7E084504
	v_rcp_f32_e32 v5, v5                                       // 000000008F58: 7E0A4505
	v_rcp_f32_e32 v6, v6                                       // 000000008F5C: 7E0C4506
	v_rcp_f32_e32 v7, v7                                       // 000000008F60: 7E0E4507
	v_mul_f32_e32 v112, v112, v4                               // 000000008F64: 0AE00970
	v_mul_f32_e32 v113, v113, v5                               // 000000008F68: 0AE20B71
	v_mul_f32_e32 v114, v114, v6                               // 000000008F6C: 0AE40D72
	v_mul_f32_e32 v115, v115, v7                               // 000000008F70: 0AE60F73
	v_mul_f32_e32 v112, v112, v148                             // 000000008F74: 0AE12970
	v_mul_f32_e32 v113, v113, v149                             // 000000008F78: 0AE32B71
	v_mul_f32_e32 v114, v114, v150                             // 000000008F7C: 0AE52D72
	v_mul_f32_e32 v115, v115, v151                             // 000000008F80: 0AE72F73
	v_pk_mul_f32 v[4:5], v[116:117], v[116:117]                // 000000008F84: D3B14004 1802E974
	v_pk_mul_f32 v[6:7], v[118:119], v[118:119]                // 000000008F8C: D3B14006 1802ED76
	v_pk_fma_f32 v[4:5], v[4:5], s[78:79], v[8:9]              // 000000008F94: D3B04004 1C209D04
	v_pk_fma_f32 v[6:7], v[6:7], s[78:79], v[8:9]              // 000000008F9C: D3B04006 1C209D06
	v_pk_mul_f32 v[4:5], v[4:5], v[116:117]                    // 000000008FA4: D3B14004 1802E904
	v_pk_mul_f32 v[6:7], v[6:7], v[118:119]                    // 000000008FAC: D3B14006 1802ED06
	v_pk_mul_f32 v[4:5], v[4:5], s[60:61]                      // 000000008FB4: D3B14004 18007904
	v_pk_mul_f32 v[6:7], v[6:7], s[60:61]                      // 000000008FBC: D3B14006 18007906
	v_exp_f32_e32 v4, v4                                       // 000000008FC4: 7E084104
	v_exp_f32_e32 v5, v5                                       // 000000008FC8: 7E0A4105
	v_exp_f32_e32 v6, v6                                       // 000000008FCC: 7E0C4106
	v_exp_f32_e32 v7, v7                                       // 000000008FD0: 7E0E4107
	v_add_f32_e64 v4, v4, 1.0                                  // 000000008FD4: D1010004 0001E504
	v_add_f32_e64 v5, v5, 1.0                                  // 000000008FDC: D1010005 0001E505
	v_add_f32_e64 v6, v6, 1.0                                  // 000000008FE4: D1010006 0001E506
	v_add_f32_e64 v7, v7, 1.0                                  // 000000008FEC: D1010007 0001E507
	v_rcp_f32_e32 v4, v4                                       // 000000008FF4: 7E084504
	v_rcp_f32_e32 v5, v5                                       // 000000008FF8: 7E0A4505
	v_rcp_f32_e32 v6, v6                                       // 000000008FFC: 7E0C4506
	v_rcp_f32_e32 v7, v7                                       // 000000009000: 7E0E4507
	v_mul_f32_e32 v116, v116, v4                               // 000000009004: 0AE80974
	v_mul_f32_e32 v117, v117, v5                               // 000000009008: 0AEA0B75
	v_mul_f32_e32 v118, v118, v6                               // 00000000900C: 0AEC0D76
	v_mul_f32_e32 v119, v119, v7                               // 000000009010: 0AEE0F77
	v_mul_f32_e32 v116, v116, v152                             // 000000009014: 0AE93174
	v_mul_f32_e32 v117, v117, v153                             // 000000009018: 0AEB3375
	v_mul_f32_e32 v118, v118, v154                             // 00000000901C: 0AED3576
	v_mul_f32_e32 v119, v119, v155                             // 000000009020: 0AEF3777
	s_branch label_1AAD                                        // 000000009024: BF820120

0000000000009028 <label_198D>:
	v_mul_f32_e64 v4, -v84, s6                                 // 000000009028: D1050004 20000D54
	v_mul_f32_e64 v5, -v85, s6                                 // 000000009030: D1050005 20000D55
	v_mul_f32_e64 v6, -v86, s6                                 // 000000009038: D1050006 20000D56
	v_mul_f32_e64 v7, -v87, s6                                 // 000000009040: D1050007 20000D57
	v_exp_f32_e32 v4, v4                                       // 000000009048: 7E084104
	v_exp_f32_e32 v5, v5                                       // 00000000904C: 7E0A4105
	v_exp_f32_e32 v6, v6                                       // 000000009050: 7E0C4106
	v_exp_f32_e32 v7, v7                                       // 000000009054: 7E0E4107
	v_add_f32_e64 v4, v4, 1.0                                  // 000000009058: D1010004 0001E504
	v_add_f32_e64 v5, v5, 1.0                                  // 000000009060: D1010005 0001E505
	v_add_f32_e64 v6, v6, 1.0                                  // 000000009068: D1010006 0001E506
	v_add_f32_e64 v7, v7, 1.0                                  // 000000009070: D1010007 0001E507
	v_rcp_f32_e32 v4, v4                                       // 000000009078: 7E084504
	v_rcp_f32_e32 v5, v5                                       // 00000000907C: 7E0A4505
	v_rcp_f32_e32 v6, v6                                       // 000000009080: 7E0C4506
	v_rcp_f32_e32 v7, v7                                       // 000000009084: 7E0E4507
	v_mul_f32_e32 v84, v84, v4                                 // 000000009088: 0AA80954
	v_mul_f32_e32 v85, v85, v5                                 // 00000000908C: 0AAA0B55
	v_mul_f32_e32 v86, v86, v6                                 // 000000009090: 0AAC0D56
	v_mul_f32_e32 v87, v87, v7                                 // 000000009094: 0AAE0F57
	v_mul_f32_e32 v84, v84, v120                               // 000000009098: 0AA8F154
	v_mul_f32_e32 v85, v85, v121                               // 00000000909C: 0AAAF355
	v_mul_f32_e32 v86, v86, v122                               // 0000000090A0: 0AACF556
	v_mul_f32_e32 v87, v87, v123                               // 0000000090A4: 0AAEF757
	v_mul_f32_e64 v4, -v88, s6                                 // 0000000090A8: D1050004 20000D58
	v_mul_f32_e64 v5, -v89, s6                                 // 0000000090B0: D1050005 20000D59
	v_mul_f32_e64 v6, -v90, s6                                 // 0000000090B8: D1050006 20000D5A
	v_mul_f32_e64 v7, -v91, s6                                 // 0000000090C0: D1050007 20000D5B
	v_exp_f32_e32 v4, v4                                       // 0000000090C8: 7E084104
	v_exp_f32_e32 v5, v5                                       // 0000000090CC: 7E0A4105
	v_exp_f32_e32 v6, v6                                       // 0000000090D0: 7E0C4106
	v_exp_f32_e32 v7, v7                                       // 0000000090D4: 7E0E4107
	v_add_f32_e64 v4, v4, 1.0                                  // 0000000090D8: D1010004 0001E504
	v_add_f32_e64 v5, v5, 1.0                                  // 0000000090E0: D1010005 0001E505
	v_add_f32_e64 v6, v6, 1.0                                  // 0000000090E8: D1010006 0001E506
	v_add_f32_e64 v7, v7, 1.0                                  // 0000000090F0: D1010007 0001E507
	v_rcp_f32_e32 v4, v4                                       // 0000000090F8: 7E084504
	v_rcp_f32_e32 v5, v5                                       // 0000000090FC: 7E0A4505
	v_rcp_f32_e32 v6, v6                                       // 000000009100: 7E0C4506
	v_rcp_f32_e32 v7, v7                                       // 000000009104: 7E0E4507
	v_mul_f32_e32 v88, v88, v4                                 // 000000009108: 0AB00958
	v_mul_f32_e32 v89, v89, v5                                 // 00000000910C: 0AB20B59
	v_mul_f32_e32 v90, v90, v6                                 // 000000009110: 0AB40D5A
	v_mul_f32_e32 v91, v91, v7                                 // 000000009114: 0AB60F5B
	v_mul_f32_e32 v88, v88, v124                               // 000000009118: 0AB0F958
	v_mul_f32_e32 v89, v89, v125                               // 00000000911C: 0AB2FB59
	v_mul_f32_e32 v90, v90, v126                               // 000000009120: 0AB4FD5A
	v_mul_f32_e32 v91, v91, v127                               // 000000009124: 0AB6FF5B
	v_mul_f32_e64 v4, -v92, s6                                 // 000000009128: D1050004 20000D5C
	v_mul_f32_e64 v5, -v93, s6                                 // 000000009130: D1050005 20000D5D
	v_mul_f32_e64 v6, -v94, s6                                 // 000000009138: D1050006 20000D5E
	v_mul_f32_e64 v7, -v95, s6                                 // 000000009140: D1050007 20000D5F
	v_exp_f32_e32 v4, v4                                       // 000000009148: 7E084104
	v_exp_f32_e32 v5, v5                                       // 00000000914C: 7E0A4105
	v_exp_f32_e32 v6, v6                                       // 000000009150: 7E0C4106
	v_exp_f32_e32 v7, v7                                       // 000000009154: 7E0E4107
	v_add_f32_e64 v4, v4, 1.0                                  // 000000009158: D1010004 0001E504
	v_add_f32_e64 v5, v5, 1.0                                  // 000000009160: D1010005 0001E505
	v_add_f32_e64 v6, v6, 1.0                                  // 000000009168: D1010006 0001E506
	v_add_f32_e64 v7, v7, 1.0                                  // 000000009170: D1010007 0001E507
	v_rcp_f32_e32 v4, v4                                       // 000000009178: 7E084504
	v_rcp_f32_e32 v5, v5                                       // 00000000917C: 7E0A4505
	v_rcp_f32_e32 v6, v6                                       // 000000009180: 7E0C4506
	v_rcp_f32_e32 v7, v7                                       // 000000009184: 7E0E4507
	v_mul_f32_e32 v92, v92, v4                                 // 000000009188: 0AB8095C
	v_mul_f32_e32 v93, v93, v5                                 // 00000000918C: 0ABA0B5D
	v_mul_f32_e32 v94, v94, v6                                 // 000000009190: 0ABC0D5E
	v_mul_f32_e32 v95, v95, v7                                 // 000000009194: 0ABE0F5F
	v_mul_f32_e32 v92, v92, v128                               // 000000009198: 0AB9015C
	v_mul_f32_e32 v93, v93, v129                               // 00000000919C: 0ABB035D
	v_mul_f32_e32 v94, v94, v130                               // 0000000091A0: 0ABD055E
	v_mul_f32_e32 v95, v95, v131                               // 0000000091A4: 0ABF075F
	v_mul_f32_e64 v4, -v96, s6                                 // 0000000091A8: D1050004 20000D60
	v_mul_f32_e64 v5, -v97, s6                                 // 0000000091B0: D1050005 20000D61
	v_mul_f32_e64 v6, -v98, s6                                 // 0000000091B8: D1050006 20000D62
	v_mul_f32_e64 v7, -v99, s6                                 // 0000000091C0: D1050007 20000D63
	v_exp_f32_e32 v4, v4                                       // 0000000091C8: 7E084104
	v_exp_f32_e32 v5, v5                                       // 0000000091CC: 7E0A4105
	v_exp_f32_e32 v6, v6                                       // 0000000091D0: 7E0C4106
	v_exp_f32_e32 v7, v7                                       // 0000000091D4: 7E0E4107
	v_add_f32_e64 v4, v4, 1.0                                  // 0000000091D8: D1010004 0001E504
	v_add_f32_e64 v5, v5, 1.0                                  // 0000000091E0: D1010005 0001E505
	v_add_f32_e64 v6, v6, 1.0                                  // 0000000091E8: D1010006 0001E506
	v_add_f32_e64 v7, v7, 1.0                                  // 0000000091F0: D1010007 0001E507
	v_rcp_f32_e32 v4, v4                                       // 0000000091F8: 7E084504
	v_rcp_f32_e32 v5, v5                                       // 0000000091FC: 7E0A4505
	v_rcp_f32_e32 v6, v6                                       // 000000009200: 7E0C4506
	v_rcp_f32_e32 v7, v7                                       // 000000009204: 7E0E4507
	v_mul_f32_e32 v96, v96, v4                                 // 000000009208: 0AC00960
	v_mul_f32_e32 v97, v97, v5                                 // 00000000920C: 0AC20B61
	v_mul_f32_e32 v98, v98, v6                                 // 000000009210: 0AC40D62
	v_mul_f32_e32 v99, v99, v7                                 // 000000009214: 0AC60F63
	v_mul_f32_e32 v96, v96, v132                               // 000000009218: 0AC10960
	v_mul_f32_e32 v97, v97, v133                               // 00000000921C: 0AC30B61
	v_mul_f32_e32 v98, v98, v134                               // 000000009220: 0AC50D62
	v_mul_f32_e32 v99, v99, v135                               // 000000009224: 0AC70F63
	v_mul_f32_e64 v4, -v100, s6                                // 000000009228: D1050004 20000D64
	v_mul_f32_e64 v5, -v101, s6                                // 000000009230: D1050005 20000D65
	v_mul_f32_e64 v6, -v102, s6                                // 000000009238: D1050006 20000D66
	v_mul_f32_e64 v7, -v103, s6                                // 000000009240: D1050007 20000D67
	v_exp_f32_e32 v4, v4                                       // 000000009248: 7E084104
	v_exp_f32_e32 v5, v5                                       // 00000000924C: 7E0A4105
	v_exp_f32_e32 v6, v6                                       // 000000009250: 7E0C4106
	v_exp_f32_e32 v7, v7                                       // 000000009254: 7E0E4107
	v_add_f32_e64 v4, v4, 1.0                                  // 000000009258: D1010004 0001E504
	v_add_f32_e64 v5, v5, 1.0                                  // 000000009260: D1010005 0001E505
	v_add_f32_e64 v6, v6, 1.0                                  // 000000009268: D1010006 0001E506
	v_add_f32_e64 v7, v7, 1.0                                  // 000000009270: D1010007 0001E507
	v_rcp_f32_e32 v4, v4                                       // 000000009278: 7E084504
	v_rcp_f32_e32 v5, v5                                       // 00000000927C: 7E0A4505
	v_rcp_f32_e32 v6, v6                                       // 000000009280: 7E0C4506
	v_rcp_f32_e32 v7, v7                                       // 000000009284: 7E0E4507
	v_mul_f32_e32 v100, v100, v4                               // 000000009288: 0AC80964
	v_mul_f32_e32 v101, v101, v5                               // 00000000928C: 0ACA0B65
	v_mul_f32_e32 v102, v102, v6                               // 000000009290: 0ACC0D66
	v_mul_f32_e32 v103, v103, v7                               // 000000009294: 0ACE0F67
	v_mul_f32_e32 v100, v100, v136                             // 000000009298: 0AC91164
	v_mul_f32_e32 v101, v101, v137                             // 00000000929C: 0ACB1365
	v_mul_f32_e32 v102, v102, v138                             // 0000000092A0: 0ACD1566
	v_mul_f32_e32 v103, v103, v139                             // 0000000092A4: 0ACF1767
	v_mul_f32_e64 v4, -v104, s6                                // 0000000092A8: D1050004 20000D68
	v_mul_f32_e64 v5, -v105, s6                                // 0000000092B0: D1050005 20000D69
	v_mul_f32_e64 v6, -v106, s6                                // 0000000092B8: D1050006 20000D6A
	v_mul_f32_e64 v7, -v107, s6                                // 0000000092C0: D1050007 20000D6B
	v_exp_f32_e32 v4, v4                                       // 0000000092C8: 7E084104
	v_exp_f32_e32 v5, v5                                       // 0000000092CC: 7E0A4105
	v_exp_f32_e32 v6, v6                                       // 0000000092D0: 7E0C4106
	v_exp_f32_e32 v7, v7                                       // 0000000092D4: 7E0E4107
	v_add_f32_e64 v4, v4, 1.0                                  // 0000000092D8: D1010004 0001E504
	v_add_f32_e64 v5, v5, 1.0                                  // 0000000092E0: D1010005 0001E505
	v_add_f32_e64 v6, v6, 1.0                                  // 0000000092E8: D1010006 0001E506
	v_add_f32_e64 v7, v7, 1.0                                  // 0000000092F0: D1010007 0001E507
	v_rcp_f32_e32 v4, v4                                       // 0000000092F8: 7E084504
	v_rcp_f32_e32 v5, v5                                       // 0000000092FC: 7E0A4505
	v_rcp_f32_e32 v6, v6                                       // 000000009300: 7E0C4506
	v_rcp_f32_e32 v7, v7                                       // 000000009304: 7E0E4507
	v_mul_f32_e32 v104, v104, v4                               // 000000009308: 0AD00968
	v_mul_f32_e32 v105, v105, v5                               // 00000000930C: 0AD20B69
	v_mul_f32_e32 v106, v106, v6                               // 000000009310: 0AD40D6A
	v_mul_f32_e32 v107, v107, v7                               // 000000009314: 0AD60F6B
	v_mul_f32_e32 v104, v104, v140                             // 000000009318: 0AD11968
	v_mul_f32_e32 v105, v105, v141                             // 00000000931C: 0AD31B69
	v_mul_f32_e32 v106, v106, v142                             // 000000009320: 0AD51D6A
	v_mul_f32_e32 v107, v107, v143                             // 000000009324: 0AD71F6B
	v_mul_f32_e64 v4, -v108, s6                                // 000000009328: D1050004 20000D6C
	v_mul_f32_e64 v5, -v109, s6                                // 000000009330: D1050005 20000D6D
	v_mul_f32_e64 v6, -v110, s6                                // 000000009338: D1050006 20000D6E
	v_mul_f32_e64 v7, -v111, s6                                // 000000009340: D1050007 20000D6F
	v_exp_f32_e32 v4, v4                                       // 000000009348: 7E084104
	v_exp_f32_e32 v5, v5                                       // 00000000934C: 7E0A4105
	v_exp_f32_e32 v6, v6                                       // 000000009350: 7E0C4106
	v_exp_f32_e32 v7, v7                                       // 000000009354: 7E0E4107
	v_add_f32_e64 v4, v4, 1.0                                  // 000000009358: D1010004 0001E504
	v_add_f32_e64 v5, v5, 1.0                                  // 000000009360: D1010005 0001E505
	v_add_f32_e64 v6, v6, 1.0                                  // 000000009368: D1010006 0001E506
	v_add_f32_e64 v7, v7, 1.0                                  // 000000009370: D1010007 0001E507
	v_rcp_f32_e32 v4, v4                                       // 000000009378: 7E084504
	v_rcp_f32_e32 v5, v5                                       // 00000000937C: 7E0A4505
	v_rcp_f32_e32 v6, v6                                       // 000000009380: 7E0C4506
	v_rcp_f32_e32 v7, v7                                       // 000000009384: 7E0E4507
	v_mul_f32_e32 v108, v108, v4                               // 000000009388: 0AD8096C
	v_mul_f32_e32 v109, v109, v5                               // 00000000938C: 0ADA0B6D
	v_mul_f32_e32 v110, v110, v6                               // 000000009390: 0ADC0D6E
	v_mul_f32_e32 v111, v111, v7                               // 000000009394: 0ADE0F6F
	v_mul_f32_e32 v108, v108, v144                             // 000000009398: 0AD9216C
	v_mul_f32_e32 v109, v109, v145                             // 00000000939C: 0ADB236D
	v_mul_f32_e32 v110, v110, v146                             // 0000000093A0: 0ADD256E
	v_mul_f32_e32 v111, v111, v147                             // 0000000093A4: 0ADF276F
	v_mul_f32_e64 v4, -v112, s6                                // 0000000093A8: D1050004 20000D70
	v_mul_f32_e64 v5, -v113, s6                                // 0000000093B0: D1050005 20000D71
	v_mul_f32_e64 v6, -v114, s6                                // 0000000093B8: D1050006 20000D72
	v_mul_f32_e64 v7, -v115, s6                                // 0000000093C0: D1050007 20000D73
	v_exp_f32_e32 v4, v4                                       // 0000000093C8: 7E084104
	v_exp_f32_e32 v5, v5                                       // 0000000093CC: 7E0A4105
	v_exp_f32_e32 v6, v6                                       // 0000000093D0: 7E0C4106
	v_exp_f32_e32 v7, v7                                       // 0000000093D4: 7E0E4107
	v_add_f32_e64 v4, v4, 1.0                                  // 0000000093D8: D1010004 0001E504
	v_add_f32_e64 v5, v5, 1.0                                  // 0000000093E0: D1010005 0001E505
	v_add_f32_e64 v6, v6, 1.0                                  // 0000000093E8: D1010006 0001E506
	v_add_f32_e64 v7, v7, 1.0                                  // 0000000093F0: D1010007 0001E507
	v_rcp_f32_e32 v4, v4                                       // 0000000093F8: 7E084504
	v_rcp_f32_e32 v5, v5                                       // 0000000093FC: 7E0A4505
	v_rcp_f32_e32 v6, v6                                       // 000000009400: 7E0C4506
	v_rcp_f32_e32 v7, v7                                       // 000000009404: 7E0E4507
	v_mul_f32_e32 v112, v112, v4                               // 000000009408: 0AE00970
	v_mul_f32_e32 v113, v113, v5                               // 00000000940C: 0AE20B71
	v_mul_f32_e32 v114, v114, v6                               // 000000009410: 0AE40D72
	v_mul_f32_e32 v115, v115, v7                               // 000000009414: 0AE60F73
	v_mul_f32_e32 v112, v112, v148                             // 000000009418: 0AE12970
	v_mul_f32_e32 v113, v113, v149                             // 00000000941C: 0AE32B71
	v_mul_f32_e32 v114, v114, v150                             // 000000009420: 0AE52D72
	v_mul_f32_e32 v115, v115, v151                             // 000000009424: 0AE72F73
	v_mul_f32_e64 v4, -v116, s6                                // 000000009428: D1050004 20000D74
	v_mul_f32_e64 v5, -v117, s6                                // 000000009430: D1050005 20000D75
	v_mul_f32_e64 v6, -v118, s6                                // 000000009438: D1050006 20000D76
	v_mul_f32_e64 v7, -v119, s6                                // 000000009440: D1050007 20000D77
	v_exp_f32_e32 v4, v4                                       // 000000009448: 7E084104
	v_exp_f32_e32 v5, v5                                       // 00000000944C: 7E0A4105
	v_exp_f32_e32 v6, v6                                       // 000000009450: 7E0C4106
	v_exp_f32_e32 v7, v7                                       // 000000009454: 7E0E4107
	v_add_f32_e64 v4, v4, 1.0                                  // 000000009458: D1010004 0001E504
	v_add_f32_e64 v5, v5, 1.0                                  // 000000009460: D1010005 0001E505
	v_add_f32_e64 v6, v6, 1.0                                  // 000000009468: D1010006 0001E506
	v_add_f32_e64 v7, v7, 1.0                                  // 000000009470: D1010007 0001E507
	v_rcp_f32_e32 v4, v4                                       // 000000009478: 7E084504
	v_rcp_f32_e32 v5, v5                                       // 00000000947C: 7E0A4505
	v_rcp_f32_e32 v6, v6                                       // 000000009480: 7E0C4506
	v_rcp_f32_e32 v7, v7                                       // 000000009484: 7E0E4507
	v_mul_f32_e32 v116, v116, v4                               // 000000009488: 0AE80974
	v_mul_f32_e32 v117, v117, v5                               // 00000000948C: 0AEA0B75
	v_mul_f32_e32 v118, v118, v6                               // 000000009490: 0AEC0D76
	v_mul_f32_e32 v119, v119, v7                               // 000000009494: 0AEE0F77
	v_mul_f32_e32 v116, v116, v152                             // 000000009498: 0AE93174
	v_mul_f32_e32 v117, v117, v153                             // 00000000949C: 0AEB3375
	v_mul_f32_e32 v118, v118, v154                             // 0000000094A0: 0AED3576
	v_mul_f32_e32 v119, v119, v155                             // 0000000094A4: 0AEF3777

00000000000094a8 <label_1AAD>:
	v_cmp_u_f32_e64 s[46:47], v84, v84                         // 0000000094A8: D048002E 0002A954
	v_add3_u32 v16, v84, v19, 1                                // 0000000094B0: D1FF0010 02062754
	v_cndmask_b32_e64 v4, v16, v18, s[46:47]                   // 0000000094B8: D1000004 00BA2510
	v_cmp_u_f32_e64 s[46:47], v85, v85                         // 0000000094C0: D048002E 0002AB55
	v_add3_u32 v16, v85, v19, 1                                // 0000000094C8: D1FF0010 02062755
	v_cndmask_b32_e64 v5, v16, v18, s[46:47]                   // 0000000094D0: D1000005 00BA2510
	v_perm_b32 v84, v5, v4, s52                                // 0000000094D8: D1ED0054 00D20905
	v_cmp_u_f32_e64 s[46:47], v86, v86                         // 0000000094E0: D048002E 0002AD56
	v_add3_u32 v16, v86, v19, 1                                // 0000000094E8: D1FF0010 02062756
	v_cndmask_b32_e64 v4, v16, v18, s[46:47]                   // 0000000094F0: D1000004 00BA2510
	v_cmp_u_f32_e64 s[46:47], v87, v87                         // 0000000094F8: D048002E 0002AF57
	v_add3_u32 v16, v87, v19, 1                                // 000000009500: D1FF0010 02062757
	v_cndmask_b32_e64 v5, v16, v18, s[46:47]                   // 000000009508: D1000005 00BA2510
	v_perm_b32 v85, v5, v4, s52                                // 000000009510: D1ED0055 00D20905
	v_cmp_u_f32_e64 s[46:47], v88, v88                         // 000000009518: D048002E 0002B158
	v_add3_u32 v16, v88, v19, 1                                // 000000009520: D1FF0010 02062758
	v_cndmask_b32_e64 v4, v16, v18, s[46:47]                   // 000000009528: D1000004 00BA2510
	v_cmp_u_f32_e64 s[46:47], v89, v89                         // 000000009530: D048002E 0002B359
	v_add3_u32 v16, v89, v19, 1                                // 000000009538: D1FF0010 02062759
	v_cndmask_b32_e64 v5, v16, v18, s[46:47]                   // 000000009540: D1000005 00BA2510
	v_perm_b32 v86, v5, v4, s52                                // 000000009548: D1ED0056 00D20905
	v_cmp_u_f32_e64 s[46:47], v90, v90                         // 000000009550: D048002E 0002B55A
	v_add3_u32 v16, v90, v19, 1                                // 000000009558: D1FF0010 0206275A
	v_cndmask_b32_e64 v4, v16, v18, s[46:47]                   // 000000009560: D1000004 00BA2510
	v_cmp_u_f32_e64 s[46:47], v91, v91                         // 000000009568: D048002E 0002B75B
	v_add3_u32 v16, v91, v19, 1                                // 000000009570: D1FF0010 0206275B
	v_cndmask_b32_e64 v5, v16, v18, s[46:47]                   // 000000009578: D1000005 00BA2510
	v_perm_b32 v87, v5, v4, s52                                // 000000009580: D1ED0057 00D20905
	v_cmp_u_f32_e64 s[46:47], v92, v92                         // 000000009588: D048002E 0002B95C
	v_add3_u32 v16, v92, v19, 1                                // 000000009590: D1FF0010 0206275C
	v_cndmask_b32_e64 v4, v16, v18, s[46:47]                   // 000000009598: D1000004 00BA2510
	v_cmp_u_f32_e64 s[46:47], v93, v93                         // 0000000095A0: D048002E 0002BB5D
	v_add3_u32 v16, v93, v19, 1                                // 0000000095A8: D1FF0010 0206275D
	v_cndmask_b32_e64 v5, v16, v18, s[46:47]                   // 0000000095B0: D1000005 00BA2510
	v_perm_b32 v88, v5, v4, s52                                // 0000000095B8: D1ED0058 00D20905
	v_cmp_u_f32_e64 s[46:47], v94, v94                         // 0000000095C0: D048002E 0002BD5E
	v_add3_u32 v16, v94, v19, 1                                // 0000000095C8: D1FF0010 0206275E
	v_cndmask_b32_e64 v4, v16, v18, s[46:47]                   // 0000000095D0: D1000004 00BA2510
	v_cmp_u_f32_e64 s[46:47], v95, v95                         // 0000000095D8: D048002E 0002BF5F
	v_add3_u32 v16, v95, v19, 1                                // 0000000095E0: D1FF0010 0206275F
	v_cndmask_b32_e64 v5, v16, v18, s[46:47]                   // 0000000095E8: D1000005 00BA2510
	v_perm_b32 v89, v5, v4, s52                                // 0000000095F0: D1ED0059 00D20905
	v_cmp_u_f32_e64 s[46:47], v96, v96                         // 0000000095F8: D048002E 0002C160
	v_add3_u32 v16, v96, v19, 1                                // 000000009600: D1FF0010 02062760
	v_cndmask_b32_e64 v4, v16, v18, s[46:47]                   // 000000009608: D1000004 00BA2510
	v_cmp_u_f32_e64 s[46:47], v97, v97                         // 000000009610: D048002E 0002C361
	v_add3_u32 v16, v97, v19, 1                                // 000000009618: D1FF0010 02062761
	v_cndmask_b32_e64 v5, v16, v18, s[46:47]                   // 000000009620: D1000005 00BA2510
	v_perm_b32 v90, v5, v4, s52                                // 000000009628: D1ED005A 00D20905
	v_cmp_u_f32_e64 s[46:47], v98, v98                         // 000000009630: D048002E 0002C562
	v_add3_u32 v16, v98, v19, 1                                // 000000009638: D1FF0010 02062762
	v_cndmask_b32_e64 v4, v16, v18, s[46:47]                   // 000000009640: D1000004 00BA2510
	v_cmp_u_f32_e64 s[46:47], v99, v99                         // 000000009648: D048002E 0002C763
	v_add3_u32 v16, v99, v19, 1                                // 000000009650: D1FF0010 02062763
	v_cndmask_b32_e64 v5, v16, v18, s[46:47]                   // 000000009658: D1000005 00BA2510
	v_perm_b32 v91, v5, v4, s52                                // 000000009660: D1ED005B 00D20905
	v_cmp_u_f32_e64 s[46:47], v100, v100                       // 000000009668: D048002E 0002C964
	v_add3_u32 v16, v100, v19, 1                               // 000000009670: D1FF0010 02062764
	v_cndmask_b32_e64 v4, v16, v18, s[46:47]                   // 000000009678: D1000004 00BA2510
	v_cmp_u_f32_e64 s[46:47], v101, v101                       // 000000009680: D048002E 0002CB65
	v_add3_u32 v16, v101, v19, 1                               // 000000009688: D1FF0010 02062765
	v_cndmask_b32_e64 v5, v16, v18, s[46:47]                   // 000000009690: D1000005 00BA2510
	v_perm_b32 v92, v5, v4, s52                                // 000000009698: D1ED005C 00D20905
	v_cmp_u_f32_e64 s[46:47], v102, v102                       // 0000000096A0: D048002E 0002CD66
	v_add3_u32 v16, v102, v19, 1                               // 0000000096A8: D1FF0010 02062766
	v_cndmask_b32_e64 v4, v16, v18, s[46:47]                   // 0000000096B0: D1000004 00BA2510
	v_cmp_u_f32_e64 s[46:47], v103, v103                       // 0000000096B8: D048002E 0002CF67
	v_add3_u32 v16, v103, v19, 1                               // 0000000096C0: D1FF0010 02062767
	v_cndmask_b32_e64 v5, v16, v18, s[46:47]                   // 0000000096C8: D1000005 00BA2510
	v_perm_b32 v93, v5, v4, s52                                // 0000000096D0: D1ED005D 00D20905
	v_cmp_u_f32_e64 s[46:47], v104, v104                       // 0000000096D8: D048002E 0002D168
	v_add3_u32 v16, v104, v19, 1                               // 0000000096E0: D1FF0010 02062768
	v_cndmask_b32_e64 v4, v16, v18, s[46:47]                   // 0000000096E8: D1000004 00BA2510
	v_cmp_u_f32_e64 s[46:47], v105, v105                       // 0000000096F0: D048002E 0002D369
	v_add3_u32 v16, v105, v19, 1                               // 0000000096F8: D1FF0010 02062769
	v_cndmask_b32_e64 v5, v16, v18, s[46:47]                   // 000000009700: D1000005 00BA2510
	v_perm_b32 v94, v5, v4, s52                                // 000000009708: D1ED005E 00D20905
	v_cmp_u_f32_e64 s[46:47], v106, v106                       // 000000009710: D048002E 0002D56A
	v_add3_u32 v16, v106, v19, 1                               // 000000009718: D1FF0010 0206276A
	v_cndmask_b32_e64 v4, v16, v18, s[46:47]                   // 000000009720: D1000004 00BA2510
	v_cmp_u_f32_e64 s[46:47], v107, v107                       // 000000009728: D048002E 0002D76B
	v_add3_u32 v16, v107, v19, 1                               // 000000009730: D1FF0010 0206276B
	v_cndmask_b32_e64 v5, v16, v18, s[46:47]                   // 000000009738: D1000005 00BA2510
	v_perm_b32 v95, v5, v4, s52                                // 000000009740: D1ED005F 00D20905
	v_cmp_u_f32_e64 s[46:47], v108, v108                       // 000000009748: D048002E 0002D96C
	v_add3_u32 v16, v108, v19, 1                               // 000000009750: D1FF0010 0206276C
	v_cndmask_b32_e64 v4, v16, v18, s[46:47]                   // 000000009758: D1000004 00BA2510
	v_cmp_u_f32_e64 s[46:47], v109, v109                       // 000000009760: D048002E 0002DB6D
	v_add3_u32 v16, v109, v19, 1                               // 000000009768: D1FF0010 0206276D
	v_cndmask_b32_e64 v5, v16, v18, s[46:47]                   // 000000009770: D1000005 00BA2510
	v_perm_b32 v96, v5, v4, s52                                // 000000009778: D1ED0060 00D20905
	v_cmp_u_f32_e64 s[46:47], v110, v110                       // 000000009780: D048002E 0002DD6E
	v_add3_u32 v16, v110, v19, 1                               // 000000009788: D1FF0010 0206276E
	v_cndmask_b32_e64 v4, v16, v18, s[46:47]                   // 000000009790: D1000004 00BA2510
	v_cmp_u_f32_e64 s[46:47], v111, v111                       // 000000009798: D048002E 0002DF6F
	v_add3_u32 v16, v111, v19, 1                               // 0000000097A0: D1FF0010 0206276F
	v_cndmask_b32_e64 v5, v16, v18, s[46:47]                   // 0000000097A8: D1000005 00BA2510
	v_perm_b32 v97, v5, v4, s52                                // 0000000097B0: D1ED0061 00D20905
	v_cmp_u_f32_e64 s[46:47], v112, v112                       // 0000000097B8: D048002E 0002E170
	v_add3_u32 v16, v112, v19, 1                               // 0000000097C0: D1FF0010 02062770
	v_cndmask_b32_e64 v4, v16, v18, s[46:47]                   // 0000000097C8: D1000004 00BA2510
	v_cmp_u_f32_e64 s[46:47], v113, v113                       // 0000000097D0: D048002E 0002E371
	v_add3_u32 v16, v113, v19, 1                               // 0000000097D8: D1FF0010 02062771
	v_cndmask_b32_e64 v5, v16, v18, s[46:47]                   // 0000000097E0: D1000005 00BA2510
	v_perm_b32 v98, v5, v4, s52                                // 0000000097E8: D1ED0062 00D20905
	v_cmp_u_f32_e64 s[46:47], v114, v114                       // 0000000097F0: D048002E 0002E572
	v_add3_u32 v16, v114, v19, 1                               // 0000000097F8: D1FF0010 02062772
	v_cndmask_b32_e64 v4, v16, v18, s[46:47]                   // 000000009800: D1000004 00BA2510
	v_cmp_u_f32_e64 s[46:47], v115, v115                       // 000000009808: D048002E 0002E773
	v_add3_u32 v16, v115, v19, 1                               // 000000009810: D1FF0010 02062773
	v_cndmask_b32_e64 v5, v16, v18, s[46:47]                   // 000000009818: D1000005 00BA2510
	v_perm_b32 v99, v5, v4, s52                                // 000000009820: D1ED0063 00D20905
	v_cmp_u_f32_e64 s[46:47], v116, v116                       // 000000009828: D048002E 0002E974
	v_add3_u32 v16, v116, v19, 1                               // 000000009830: D1FF0010 02062774
	v_cndmask_b32_e64 v4, v16, v18, s[46:47]                   // 000000009838: D1000004 00BA2510
	v_cmp_u_f32_e64 s[46:47], v117, v117                       // 000000009840: D048002E 0002EB75
	v_add3_u32 v16, v117, v19, 1                               // 000000009848: D1FF0010 02062775
	v_cndmask_b32_e64 v5, v16, v18, s[46:47]                   // 000000009850: D1000005 00BA2510
	v_perm_b32 v100, v5, v4, s52                               // 000000009858: D1ED0064 00D20905
	v_cmp_u_f32_e64 s[46:47], v118, v118                       // 000000009860: D048002E 0002ED76
	v_add3_u32 v16, v118, v19, 1                               // 000000009868: D1FF0010 02062776
	v_cndmask_b32_e64 v4, v16, v18, s[46:47]                   // 000000009870: D1000004 00BA2510
	v_cmp_u_f32_e64 s[46:47], v119, v119                       // 000000009878: D048002E 0002EF77
	v_add3_u32 v16, v119, v19, 1                               // 000000009880: D1FF0010 02062777
	v_cndmask_b32_e64 v5, v16, v18, s[46:47]                   // 000000009888: D1000005 00BA2510
	v_perm_b32 v101, v5, v4, s52                               // 000000009890: D1ED0065 00D20905
	ds_write_b64 v20, v[84:85]                                 // 000000009898: D89A0000 00005414
	ds_write_b64 v20, v[86:87] offset:2176                     // 0000000098A0: D89A0880 00005614
	ds_write_b64 v20, v[88:89] offset:4352                     // 0000000098A8: D89A1100 00005814
	ds_write_b64 v20, v[90:91] offset:6528                     // 0000000098B0: D89A1980 00005A14
	ds_write_b64 v20, v[92:93] offset:8704                     // 0000000098B8: D89A2200 00005C14
	ds_write_b64 v20, v[94:95] offset:10880                    // 0000000098C0: D89A2A80 00005E14
	ds_write_b64 v20, v[96:97] offset:13056                    // 0000000098C8: D89A3300 00006014
	ds_write_b64 v20, v[98:99] offset:15232                    // 0000000098D0: D89A3B80 00006214
	ds_write_b64 v20, v[100:101] offset:17408                  // 0000000098D8: D89A4400 00006414
	v_lshrrev_b32_e32 v4, 5, v0                                // 0000000098E0: 20080085
	v_xor_b32_e32 v5, 1, v4                                    // 0000000098E4: 2A0A0881
	s_mul_i32 s60, s65, 2                                      // 0000000098E8: 923C8241
	s_cmp_eq_u32 s88, 0                                        // 0000000098EC: BF068058
	s_cselect_b32 s61, 1, 4                                    // 0000000098F0: 853D8481
	s_mul_i32 s60, s61, s60                                    // 0000000098F4: 923C3C3D
	v_readlane_b32 s82, v3, 0                                  // 0000000098F8: D2890052 00010103
	s_lshr_b32 s61, s82, 24                                    // 000000009900: 8F3D9852
	s_and_b32 s82, s82, 0xffffff                               // 000000009904: 8652FF52 00FFFFFF
	s_mul_i32 s82, s82, s71                                    // 00000000990C: 92524752
	s_mul_i32 s61, s60, s61                                    // 000000009910: 923D3D3C
	s_add_u32 s82, s82, s61                                    // 000000009914: 80523D52
	v_mul_lo_u32 v6, v5, s82                                   // 000000009918: D2850006 0000A505
	v_readlane_b32 s82, v3, 1                                  // 000000009920: D2890052 00010303
	s_lshr_b32 s61, s82, 24                                    // 000000009928: 8F3D9852
	s_and_b32 s82, s82, 0xffffff                               // 00000000992C: 8652FF52 00FFFFFF
	s_mul_i32 s82, s82, s71                                    // 000000009934: 92524752
	s_mul_i32 s61, s60, s61                                    // 000000009938: 923D3D3C
	s_add_u32 s82, s82, s61                                    // 00000000993C: 80523D52
	v_mul_lo_u32 v7, v4, s82                                   // 000000009940: D2850007 0000A504
	v_add_u32_e32 v64, v6, v7                                  // 000000009948: 68800F06
	v_readlane_b32 s82, v3, 2                                  // 00000000994C: D2890052 00010503
	s_lshr_b32 s61, s82, 24                                    // 000000009954: 8F3D9852
	s_and_b32 s82, s82, 0xffffff                               // 000000009958: 8652FF52 00FFFFFF
	s_mul_i32 s82, s82, s71                                    // 000000009960: 92524752
	s_mul_i32 s61, s60, s61                                    // 000000009964: 923D3D3C
	s_add_u32 s82, s82, s61                                    // 000000009968: 80523D52
	v_mul_lo_u32 v6, v5, s82                                   // 00000000996C: D2850006 0000A505
	v_readlane_b32 s82, v3, 3                                  // 000000009974: D2890052 00010703
	s_lshr_b32 s61, s82, 24                                    // 00000000997C: 8F3D9852
	s_and_b32 s82, s82, 0xffffff                               // 000000009980: 8652FF52 00FFFFFF
	s_mul_i32 s82, s82, s71                                    // 000000009988: 92524752
	s_mul_i32 s61, s60, s61                                    // 00000000998C: 923D3D3C
	s_add_u32 s82, s82, s61                                    // 000000009990: 80523D52
	v_mul_lo_u32 v7, v4, s82                                   // 000000009994: D2850007 0000A504
	v_add_u32_e32 v65, v6, v7                                  // 00000000999C: 68820F06
	v_readlane_b32 s82, v3, 4                                  // 0000000099A0: D2890052 00010903
	s_lshr_b32 s61, s82, 24                                    // 0000000099A8: 8F3D9852
	s_and_b32 s82, s82, 0xffffff                               // 0000000099AC: 8652FF52 00FFFFFF
	s_mul_i32 s82, s82, s71                                    // 0000000099B4: 92524752
	s_mul_i32 s61, s60, s61                                    // 0000000099B8: 923D3D3C
	s_add_u32 s82, s82, s61                                    // 0000000099BC: 80523D52
	v_mul_lo_u32 v6, v5, s82                                   // 0000000099C0: D2850006 0000A505
	v_readlane_b32 s82, v3, 5                                  // 0000000099C8: D2890052 00010B03
	s_lshr_b32 s61, s82, 24                                    // 0000000099D0: 8F3D9852
	s_and_b32 s82, s82, 0xffffff                               // 0000000099D4: 8652FF52 00FFFFFF
	s_mul_i32 s82, s82, s71                                    // 0000000099DC: 92524752
	s_mul_i32 s61, s60, s61                                    // 0000000099E0: 923D3D3C
	s_add_u32 s82, s82, s61                                    // 0000000099E4: 80523D52
	v_mul_lo_u32 v7, v4, s82                                   // 0000000099E8: D2850007 0000A504
	v_add_u32_e32 v66, v6, v7                                  // 0000000099F0: 68840F06
	v_readlane_b32 s82, v3, 6                                  // 0000000099F4: D2890052 00010D03
	s_lshr_b32 s61, s82, 24                                    // 0000000099FC: 8F3D9852
	s_and_b32 s82, s82, 0xffffff                               // 000000009A00: 8652FF52 00FFFFFF
	s_mul_i32 s82, s82, s71                                    // 000000009A08: 92524752
	s_mul_i32 s61, s60, s61                                    // 000000009A0C: 923D3D3C
	s_add_u32 s82, s82, s61                                    // 000000009A10: 80523D52
	v_mul_lo_u32 v6, v5, s82                                   // 000000009A14: D2850006 0000A505
	v_readlane_b32 s82, v3, 7                                  // 000000009A1C: D2890052 00010F03
	s_lshr_b32 s61, s82, 24                                    // 000000009A24: 8F3D9852
	s_and_b32 s82, s82, 0xffffff                               // 000000009A28: 8652FF52 00FFFFFF
	s_mul_i32 s82, s82, s71                                    // 000000009A30: 92524752
	s_mul_i32 s61, s60, s61                                    // 000000009A34: 923D3D3C
	s_add_u32 s82, s82, s61                                    // 000000009A38: 80523D52
	v_mul_lo_u32 v7, v4, s82                                   // 000000009A3C: D2850007 0000A504
	v_add_u32_e32 v67, v6, v7                                  // 000000009A44: 68860F06
	v_readlane_b32 s82, v3, 8                                  // 000000009A48: D2890052 00011103
	s_lshr_b32 s61, s82, 24                                    // 000000009A50: 8F3D9852
	s_and_b32 s82, s82, 0xffffff                               // 000000009A54: 8652FF52 00FFFFFF
	s_mul_i32 s82, s82, s71                                    // 000000009A5C: 92524752
	s_mul_i32 s61, s60, s61                                    // 000000009A60: 923D3D3C
	s_add_u32 s82, s82, s61                                    // 000000009A64: 80523D52
	v_mul_lo_u32 v6, v5, s82                                   // 000000009A68: D2850006 0000A505
	v_readlane_b32 s82, v3, 9                                  // 000000009A70: D2890052 00011303
	s_lshr_b32 s61, s82, 24                                    // 000000009A78: 8F3D9852
	s_and_b32 s82, s82, 0xffffff                               // 000000009A7C: 8652FF52 00FFFFFF
	s_mul_i32 s82, s82, s71                                    // 000000009A84: 92524752
	s_mul_i32 s61, s60, s61                                    // 000000009A88: 923D3D3C
	s_add_u32 s82, s82, s61                                    // 000000009A8C: 80523D52
	v_mul_lo_u32 v7, v4, s82                                   // 000000009A90: D2850007 0000A504
	v_add_u32_e32 v68, v6, v7                                  // 000000009A98: 68880F06
	v_readlane_b32 s82, v3, 10                                 // 000000009A9C: D2890052 00011503
	s_lshr_b32 s61, s82, 24                                    // 000000009AA4: 8F3D9852
	s_and_b32 s82, s82, 0xffffff                               // 000000009AA8: 8652FF52 00FFFFFF
	s_mul_i32 s82, s82, s71                                    // 000000009AB0: 92524752
	s_mul_i32 s61, s60, s61                                    // 000000009AB4: 923D3D3C
	s_add_u32 s82, s82, s61                                    // 000000009AB8: 80523D52
	v_mul_lo_u32 v6, v5, s82                                   // 000000009ABC: D2850006 0000A505
	v_readlane_b32 s82, v3, 11                                 // 000000009AC4: D2890052 00011703
	s_lshr_b32 s61, s82, 24                                    // 000000009ACC: 8F3D9852
	s_and_b32 s82, s82, 0xffffff                               // 000000009AD0: 8652FF52 00FFFFFF
	s_mul_i32 s82, s82, s71                                    // 000000009AD8: 92524752
	s_mul_i32 s61, s60, s61                                    // 000000009ADC: 923D3D3C
	s_add_u32 s82, s82, s61                                    // 000000009AE0: 80523D52
	v_mul_lo_u32 v7, v4, s82                                   // 000000009AE4: D2850007 0000A504
	v_add_u32_e32 v69, v6, v7                                  // 000000009AEC: 688A0F06
	v_readlane_b32 s82, v3, 12                                 // 000000009AF0: D2890052 00011903
	s_lshr_b32 s61, s82, 24                                    // 000000009AF8: 8F3D9852
	s_and_b32 s82, s82, 0xffffff                               // 000000009AFC: 8652FF52 00FFFFFF
	s_mul_i32 s82, s82, s71                                    // 000000009B04: 92524752
	s_mul_i32 s61, s60, s61                                    // 000000009B08: 923D3D3C
	s_add_u32 s82, s82, s61                                    // 000000009B0C: 80523D52
	v_mul_lo_u32 v6, v5, s82                                   // 000000009B10: D2850006 0000A505
	v_readlane_b32 s82, v3, 13                                 // 000000009B18: D2890052 00011B03
	s_lshr_b32 s61, s82, 24                                    // 000000009B20: 8F3D9852
	s_and_b32 s82, s82, 0xffffff                               // 000000009B24: 8652FF52 00FFFFFF
	s_mul_i32 s82, s82, s71                                    // 000000009B2C: 92524752
	s_mul_i32 s61, s60, s61                                    // 000000009B30: 923D3D3C
	s_add_u32 s82, s82, s61                                    // 000000009B34: 80523D52
	v_mul_lo_u32 v7, v4, s82                                   // 000000009B38: D2850007 0000A504
	v_add_u32_e32 v70, v6, v7                                  // 000000009B40: 688C0F06
	v_readlane_b32 s82, v3, 14                                 // 000000009B44: D2890052 00011D03
	s_lshr_b32 s61, s82, 24                                    // 000000009B4C: 8F3D9852
	s_and_b32 s82, s82, 0xffffff                               // 000000009B50: 8652FF52 00FFFFFF
	s_mul_i32 s82, s82, s71                                    // 000000009B58: 92524752
	s_mul_i32 s61, s60, s61                                    // 000000009B5C: 923D3D3C
	s_add_u32 s82, s82, s61                                    // 000000009B60: 80523D52
	v_mul_lo_u32 v6, v5, s82                                   // 000000009B64: D2850006 0000A505
	v_readlane_b32 s82, v3, 15                                 // 000000009B6C: D2890052 00011F03
	s_lshr_b32 s61, s82, 24                                    // 000000009B74: 8F3D9852
	s_and_b32 s82, s82, 0xffffff                               // 000000009B78: 8652FF52 00FFFFFF
	s_mul_i32 s82, s82, s71                                    // 000000009B80: 92524752
	s_mul_i32 s61, s60, s61                                    // 000000009B84: 923D3D3C
	s_add_u32 s82, s82, s61                                    // 000000009B88: 80523D52
	v_mul_lo_u32 v7, v4, s82                                   // 000000009B8C: D2850007 0000A504
	v_add_u32_e32 v71, v6, v7                                  // 000000009B94: 688E0F06
	v_readlane_b32 s82, v3, 16                                 // 000000009B98: D2890052 00012103
	s_lshr_b32 s61, s82, 24                                    // 000000009BA0: 8F3D9852
	s_and_b32 s82, s82, 0xffffff                               // 000000009BA4: 8652FF52 00FFFFFF
	s_mul_i32 s82, s82, s71                                    // 000000009BAC: 92524752
	s_mul_i32 s61, s60, s61                                    // 000000009BB0: 923D3D3C
	s_add_u32 s82, s82, s61                                    // 000000009BB4: 80523D52
	v_mul_lo_u32 v6, v5, s82                                   // 000000009BB8: D2850006 0000A505
	v_readlane_b32 s82, v3, 17                                 // 000000009BC0: D2890052 00012303
	s_lshr_b32 s61, s82, 24                                    // 000000009BC8: 8F3D9852
	s_and_b32 s82, s82, 0xffffff                               // 000000009BCC: 8652FF52 00FFFFFF
	s_mul_i32 s82, s82, s71                                    // 000000009BD4: 92524752
	s_mul_i32 s61, s60, s61                                    // 000000009BD8: 923D3D3C
	s_add_u32 s82, s82, s61                                    // 000000009BDC: 80523D52
	v_mul_lo_u32 v7, v4, s82                                   // 000000009BE0: D2850007 0000A504
	v_add_u32_e32 v72, v6, v7                                  // 000000009BE8: 68900F06
	v_readlane_b32 s82, v3, 18                                 // 000000009BEC: D2890052 00012503
	s_lshr_b32 s61, s82, 24                                    // 000000009BF4: 8F3D9852
	s_and_b32 s82, s82, 0xffffff                               // 000000009BF8: 8652FF52 00FFFFFF
	s_mul_i32 s82, s82, s71                                    // 000000009C00: 92524752
	s_mul_i32 s61, s60, s61                                    // 000000009C04: 923D3D3C
	s_add_u32 s82, s82, s61                                    // 000000009C08: 80523D52
	v_mul_lo_u32 v6, v5, s82                                   // 000000009C0C: D2850006 0000A505
	v_readlane_b32 s82, v3, 19                                 // 000000009C14: D2890052 00012703
	s_lshr_b32 s61, s82, 24                                    // 000000009C1C: 8F3D9852
	s_and_b32 s82, s82, 0xffffff                               // 000000009C20: 8652FF52 00FFFFFF
	s_mul_i32 s82, s82, s71                                    // 000000009C28: 92524752
	s_mul_i32 s61, s60, s61                                    // 000000009C2C: 923D3D3C
	s_add_u32 s82, s82, s61                                    // 000000009C30: 80523D52
	v_mul_lo_u32 v7, v4, s82                                   // 000000009C34: D2850007 0000A504
	v_add_u32_e32 v73, v6, v7                                  // 000000009C3C: 68920F06
	v_readlane_b32 s82, v3, 20                                 // 000000009C40: D2890052 00012903
	s_lshr_b32 s61, s82, 24                                    // 000000009C48: 8F3D9852
	s_and_b32 s82, s82, 0xffffff                               // 000000009C4C: 8652FF52 00FFFFFF
	s_mul_i32 s82, s82, s71                                    // 000000009C54: 92524752
	s_mul_i32 s61, s60, s61                                    // 000000009C58: 923D3D3C
	s_add_u32 s82, s82, s61                                    // 000000009C5C: 80523D52
	v_mul_lo_u32 v6, v5, s82                                   // 000000009C60: D2850006 0000A505
	v_readlane_b32 s82, v3, 21                                 // 000000009C68: D2890052 00012B03
	s_lshr_b32 s61, s82, 24                                    // 000000009C70: 8F3D9852
	s_and_b32 s82, s82, 0xffffff                               // 000000009C74: 8652FF52 00FFFFFF
	s_mul_i32 s82, s82, s71                                    // 000000009C7C: 92524752
	s_mul_i32 s61, s60, s61                                    // 000000009C80: 923D3D3C
	s_add_u32 s82, s82, s61                                    // 000000009C84: 80523D52
	v_mul_lo_u32 v7, v4, s82                                   // 000000009C88: D2850007 0000A504
	v_add_u32_e32 v74, v6, v7                                  // 000000009C90: 68940F06
	v_readlane_b32 s82, v3, 22                                 // 000000009C94: D2890052 00012D03
	s_lshr_b32 s61, s82, 24                                    // 000000009C9C: 8F3D9852
	s_and_b32 s82, s82, 0xffffff                               // 000000009CA0: 8652FF52 00FFFFFF
	s_mul_i32 s82, s82, s71                                    // 000000009CA8: 92524752
	s_mul_i32 s61, s60, s61                                    // 000000009CAC: 923D3D3C
	s_add_u32 s82, s82, s61                                    // 000000009CB0: 80523D52
	v_mul_lo_u32 v6, v5, s82                                   // 000000009CB4: D2850006 0000A505
	v_readlane_b32 s82, v3, 23                                 // 000000009CBC: D2890052 00012F03
	s_lshr_b32 s61, s82, 24                                    // 000000009CC4: 8F3D9852
	s_and_b32 s82, s82, 0xffffff                               // 000000009CC8: 8652FF52 00FFFFFF
	s_mul_i32 s82, s82, s71                                    // 000000009CD0: 92524752
	s_mul_i32 s61, s60, s61                                    // 000000009CD4: 923D3D3C
	s_add_u32 s82, s82, s61                                    // 000000009CD8: 80523D52
	v_mul_lo_u32 v7, v4, s82                                   // 000000009CDC: D2850007 0000A504
	v_add_u32_e32 v75, v6, v7                                  // 000000009CE4: 68960F06
	v_readlane_b32 s82, v3, 24                                 // 000000009CE8: D2890052 00013103
	s_lshr_b32 s61, s82, 24                                    // 000000009CF0: 8F3D9852
	s_and_b32 s82, s82, 0xffffff                               // 000000009CF4: 8652FF52 00FFFFFF
	s_mul_i32 s82, s82, s71                                    // 000000009CFC: 92524752
	s_mul_i32 s61, s60, s61                                    // 000000009D00: 923D3D3C
	s_add_u32 s82, s82, s61                                    // 000000009D04: 80523D52
	v_mul_lo_u32 v6, v5, s82                                   // 000000009D08: D2850006 0000A505
	v_readlane_b32 s82, v3, 25                                 // 000000009D10: D2890052 00013303
	s_lshr_b32 s61, s82, 24                                    // 000000009D18: 8F3D9852
	s_and_b32 s82, s82, 0xffffff                               // 000000009D1C: 8652FF52 00FFFFFF
	s_mul_i32 s82, s82, s71                                    // 000000009D24: 92524752
	s_mul_i32 s61, s60, s61                                    // 000000009D28: 923D3D3C
	s_add_u32 s82, s82, s61                                    // 000000009D2C: 80523D52
	v_mul_lo_u32 v7, v4, s82                                   // 000000009D30: D2850007 0000A504
	v_add_u32_e32 v76, v6, v7                                  // 000000009D38: 68980F06
	v_readlane_b32 s82, v3, 26                                 // 000000009D3C: D2890052 00013503
	s_lshr_b32 s61, s82, 24                                    // 000000009D44: 8F3D9852
	s_and_b32 s82, s82, 0xffffff                               // 000000009D48: 8652FF52 00FFFFFF
	s_mul_i32 s82, s82, s71                                    // 000000009D50: 92524752
	s_mul_i32 s61, s60, s61                                    // 000000009D54: 923D3D3C
	s_add_u32 s82, s82, s61                                    // 000000009D58: 80523D52
	v_mul_lo_u32 v6, v5, s82                                   // 000000009D5C: D2850006 0000A505
	v_readlane_b32 s82, v3, 27                                 // 000000009D64: D2890052 00013703
	s_lshr_b32 s61, s82, 24                                    // 000000009D6C: 8F3D9852
	s_and_b32 s82, s82, 0xffffff                               // 000000009D70: 8652FF52 00FFFFFF
	s_mul_i32 s82, s82, s71                                    // 000000009D78: 92524752
	s_mul_i32 s61, s60, s61                                    // 000000009D7C: 923D3D3C
	s_add_u32 s82, s82, s61                                    // 000000009D80: 80523D52
	v_mul_lo_u32 v7, v4, s82                                   // 000000009D84: D2850007 0000A504
	v_add_u32_e32 v77, v6, v7                                  // 000000009D8C: 689A0F06
	v_readlane_b32 s82, v3, 28                                 // 000000009D90: D2890052 00013903
	s_lshr_b32 s61, s82, 24                                    // 000000009D98: 8F3D9852
	s_and_b32 s82, s82, 0xffffff                               // 000000009D9C: 8652FF52 00FFFFFF
	s_mul_i32 s82, s82, s71                                    // 000000009DA4: 92524752
	s_mul_i32 s61, s60, s61                                    // 000000009DA8: 923D3D3C
	s_add_u32 s82, s82, s61                                    // 000000009DAC: 80523D52
	v_mul_lo_u32 v6, v5, s82                                   // 000000009DB0: D2850006 0000A505
	v_readlane_b32 s82, v3, 29                                 // 000000009DB8: D2890052 00013B03
	s_lshr_b32 s61, s82, 24                                    // 000000009DC0: 8F3D9852
	s_and_b32 s82, s82, 0xffffff                               // 000000009DC4: 8652FF52 00FFFFFF
	s_mul_i32 s82, s82, s71                                    // 000000009DCC: 92524752
	s_mul_i32 s61, s60, s61                                    // 000000009DD0: 923D3D3C
	s_add_u32 s82, s82, s61                                    // 000000009DD4: 80523D52
	v_mul_lo_u32 v7, v4, s82                                   // 000000009DD8: D2850007 0000A504
	v_add_u32_e32 v78, v6, v7                                  // 000000009DE0: 689C0F06
	v_readlane_b32 s82, v3, 30                                 // 000000009DE4: D2890052 00013D03
	s_lshr_b32 s61, s82, 24                                    // 000000009DEC: 8F3D9852
	s_and_b32 s82, s82, 0xffffff                               // 000000009DF0: 8652FF52 00FFFFFF
	s_mul_i32 s82, s82, s71                                    // 000000009DF8: 92524752
	s_mul_i32 s61, s60, s61                                    // 000000009DFC: 923D3D3C
	s_add_u32 s82, s82, s61                                    // 000000009E00: 80523D52
	v_mul_lo_u32 v6, v5, s82                                   // 000000009E04: D2850006 0000A505
	v_readlane_b32 s82, v3, 31                                 // 000000009E0C: D2890052 00013F03
	s_lshr_b32 s61, s82, 24                                    // 000000009E14: 8F3D9852
	s_and_b32 s82, s82, 0xffffff                               // 000000009E18: 8652FF52 00FFFFFF
	s_mul_i32 s82, s82, s71                                    // 000000009E20: 92524752
	s_mul_i32 s61, s60, s61                                    // 000000009E24: 923D3D3C
	s_add_u32 s82, s82, s61                                    // 000000009E28: 80523D52
	v_mul_lo_u32 v7, v4, s82                                   // 000000009E2C: D2850007 0000A504
	v_add_u32_e32 v79, v6, v7                                  // 000000009E34: 689E0F06
	v_readlane_b32 s82, v3, 32                                 // 000000009E38: D2890052 00014103
	s_lshr_b32 s61, s82, 24                                    // 000000009E40: 8F3D9852
	s_and_b32 s82, s82, 0xffffff                               // 000000009E44: 8652FF52 00FFFFFF
	s_mul_i32 s82, s82, s71                                    // 000000009E4C: 92524752
	s_mul_i32 s61, s60, s61                                    // 000000009E50: 923D3D3C
	s_add_u32 s82, s82, s61                                    // 000000009E54: 80523D52
	v_mul_lo_u32 v6, v5, s82                                   // 000000009E58: D2850006 0000A505
	v_readlane_b32 s82, v3, 33                                 // 000000009E60: D2890052 00014303
	s_lshr_b32 s61, s82, 24                                    // 000000009E68: 8F3D9852
	s_and_b32 s82, s82, 0xffffff                               // 000000009E6C: 8652FF52 00FFFFFF
	s_mul_i32 s82, s82, s71                                    // 000000009E74: 92524752
	s_mul_i32 s61, s60, s61                                    // 000000009E78: 923D3D3C
	s_add_u32 s82, s82, s61                                    // 000000009E7C: 80523D52
	v_mul_lo_u32 v7, v4, s82                                   // 000000009E80: D2850007 0000A504
	v_add_u32_e32 v80, v6, v7                                  // 000000009E88: 68A00F06
	v_readlane_b32 s82, v3, 34                                 // 000000009E8C: D2890052 00014503
	s_lshr_b32 s61, s82, 24                                    // 000000009E94: 8F3D9852
	s_and_b32 s82, s82, 0xffffff                               // 000000009E98: 8652FF52 00FFFFFF
	s_mul_i32 s82, s82, s71                                    // 000000009EA0: 92524752
	s_mul_i32 s61, s60, s61                                    // 000000009EA4: 923D3D3C
	s_add_u32 s82, s82, s61                                    // 000000009EA8: 80523D52
	v_mul_lo_u32 v6, v5, s82                                   // 000000009EAC: D2850006 0000A505
	v_readlane_b32 s82, v3, 35                                 // 000000009EB4: D2890052 00014703
	s_lshr_b32 s61, s82, 24                                    // 000000009EBC: 8F3D9852
	s_and_b32 s82, s82, 0xffffff                               // 000000009EC0: 8652FF52 00FFFFFF
	s_mul_i32 s82, s82, s71                                    // 000000009EC8: 92524752
	s_mul_i32 s61, s60, s61                                    // 000000009ECC: 923D3D3C
	s_add_u32 s82, s82, s61                                    // 000000009ED0: 80523D52
	v_mul_lo_u32 v7, v4, s82                                   // 000000009ED4: D2850007 0000A504
	v_add_u32_e32 v81, v6, v7                                  // 000000009EDC: 68A20F06
	v_and_b32_e32 v4, 31, v0                                   // 000000009EE0: 2608009F
	v_lshrrev_b32_e32 v4, 1, v4                                // 000000009EE4: 20080881
	s_cmp_eq_u32 s88, 0                                        // 000000009EE8: BF068058
	s_cselect_b32 s61, 2, 4                                    // 000000009EEC: 853D8482
	v_mul_lo_u32 v4, v4, s61                                   // 000000009EF0: D2850004 00007B04
	v_and_b32_e64 v5, v0, 1                                    // 000000009EF8: D1130005 00010300
	v_add_u32_e32 v4, v4, v5                                   // 000000009F00: 68080B04
	v_lshlrev_b32_e32 v4, 2, v4                                // 000000009F04: 24080882
	v_add_u32_e32 v64, v64, v4                                 // 000000009F08: 68800940
	v_add_u32_e32 v65, v65, v4                                 // 000000009F0C: 68820941
	v_add_u32_e32 v66, v66, v4                                 // 000000009F10: 68840942
	v_add_u32_e32 v67, v67, v4                                 // 000000009F14: 68860943
	v_add_u32_e32 v68, v68, v4                                 // 000000009F18: 68880944
	v_add_u32_e32 v69, v69, v4                                 // 000000009F1C: 688A0945
	v_add_u32_e32 v70, v70, v4                                 // 000000009F20: 688C0946
	v_add_u32_e32 v71, v71, v4                                 // 000000009F24: 688E0947
	v_add_u32_e32 v72, v72, v4                                 // 000000009F28: 68900948
	v_add_u32_e32 v73, v73, v4                                 // 000000009F2C: 68920949
	v_add_u32_e32 v74, v74, v4                                 // 000000009F30: 6894094A
	v_add_u32_e32 v75, v75, v4                                 // 000000009F34: 6896094B
	v_add_u32_e32 v76, v76, v4                                 // 000000009F38: 6898094C
	v_add_u32_e32 v77, v77, v4                                 // 000000009F3C: 689A094D
	v_add_u32_e32 v78, v78, v4                                 // 000000009F40: 689C094E
	v_add_u32_e32 v79, v79, v4                                 // 000000009F44: 689E094F
	v_add_u32_e32 v80, v80, v4                                 // 000000009F48: 68A00950
	v_add_u32_e32 v81, v81, v4                                 // 000000009F4C: 68A20951
	s_waitcnt lgkmcnt(0)                                       // 000000009F50: BF8CC07F
	s_barrier                                                  // 000000009F54: BF8A0000
	ds_read_b32 v84, v21                                       // 000000009F58: D86C0000 54000015
	ds_read_b32 v85, v21 offset:64                             // 000000009F60: D86C0040 55000015
	ds_read_b32 v86, v21 offset:2176                           // 000000009F68: D86C0880 56000015
	ds_read_b32 v87, v21 offset:2240                           // 000000009F70: D86C08C0 57000015
	ds_read_b32 v88, v21 offset:4352                           // 000000009F78: D86C1100 58000015
	ds_read_b32 v89, v21 offset:4416                           // 000000009F80: D86C1140 59000015
	ds_read_b32 v90, v21 offset:6528                           // 000000009F88: D86C1980 5A000015
	ds_read_b32 v91, v21 offset:6592                           // 000000009F90: D86C19C0 5B000015
	ds_read_b32 v92, v21 offset:8704                           // 000000009F98: D86C2200 5C000015
	ds_read_b32 v93, v21 offset:8768                           // 000000009FA0: D86C2240 5D000015
	ds_read_b32 v94, v21 offset:10880                          // 000000009FA8: D86C2A80 5E000015
	ds_read_b32 v95, v21 offset:10944                          // 000000009FB0: D86C2AC0 5F000015
	ds_read_b32 v96, v21 offset:13056                          // 000000009FB8: D86C3300 60000015
	ds_read_b32 v97, v21 offset:13120                          // 000000009FC0: D86C3340 61000015
	ds_read_b32 v98, v21 offset:15232                          // 000000009FC8: D86C3B80 62000015
	ds_read_b32 v99, v21 offset:15296                          // 000000009FD0: D86C3BC0 63000015
	ds_read_b32 v100, v21 offset:17408                         // 000000009FD8: D86C4400 64000015
	ds_read_b32 v101, v21 offset:17472                         // 000000009FE0: D86C4440 65000015
	s_waitcnt lgkmcnt(0)                                       // 000000009FE8: BF8CC07F
	s_mov_b32 s36, -1                                          // 000000009FEC: BEA400C1
	s_mov_b32 s37, -1                                          // 000000009FF0: BEA500C1
	v_mov_b32_e32 v7, 0                                        // 000000009FF4: 7E0E0280
	s_or_b32 s9, s9, 0x40000                                   // 000000009FF8: 8709FF09 00040000
	s_mov_b64 exec, s[36:37]                                   // 00000000A000: BEFE0124
	v_mov_b32_e32 v6, v64                                      // 00000000A004: 7E0C0340
	s_mov_b64 s[60:61], 0                                      // 00000000A008: BEBC0180
	v_readlane_b32 s82, v3, 0                                  // 00000000A00C: D2890052 00010103
	s_and_b32 s82, s82, 0xffffff                               // 00000000A014: 8652FF52 00FFFFFF
	s_cmp_lt_u32 s82, s66                                      // 00000000A01C: BF0A4252
	s_cselect_b32 s20, s36, s60                                // 00000000A020: 85143C24
	v_readlane_b32 s82, v3, 1                                  // 00000000A024: D2890052 00010303
	s_and_b32 s82, s82, 0xffffff                               // 00000000A02C: 8652FF52 00FFFFFF
	s_cmp_lt_u32 s82, s66                                      // 00000000A034: BF0A4252
	s_cselect_b32 s21, s36, s60                                // 00000000A038: 85153C24
	s_mov_b64 exec, s[20:21]                                   // 00000000A03C: BEFE0114
	buffer_store_dword v84, v6, s[8:11], 0 offen               // 00000000A040: E0701000 80025406
	s_mov_b64 exec, s[36:37]                                   // 00000000A048: BEFE0124
	v_mov_b32_e32 v6, v65                                      // 00000000A04C: 7E0C0341
	s_mov_b64 s[60:61], 0                                      // 00000000A050: BEBC0180
	v_readlane_b32 s82, v3, 2                                  // 00000000A054: D2890052 00010503
	s_and_b32 s82, s82, 0xffffff                               // 00000000A05C: 8652FF52 00FFFFFF
	s_cmp_lt_u32 s82, s66                                      // 00000000A064: BF0A4252
	s_cselect_b32 s20, s36, s60                                // 00000000A068: 85143C24
	v_readlane_b32 s82, v3, 3                                  // 00000000A06C: D2890052 00010703
	s_and_b32 s82, s82, 0xffffff                               // 00000000A074: 8652FF52 00FFFFFF
	s_cmp_lt_u32 s82, s66                                      // 00000000A07C: BF0A4252
	s_cselect_b32 s21, s36, s60                                // 00000000A080: 85153C24
	s_mov_b64 exec, s[20:21]                                   // 00000000A084: BEFE0114
	buffer_store_dword v85, v6, s[8:11], 0 offen               // 00000000A088: E0701000 80025506
	s_mov_b64 exec, s[36:37]                                   // 00000000A090: BEFE0124
	v_mov_b32_e32 v6, v66                                      // 00000000A094: 7E0C0342
	s_mov_b64 s[60:61], 0                                      // 00000000A098: BEBC0180
	v_readlane_b32 s82, v3, 4                                  // 00000000A09C: D2890052 00010903
	s_and_b32 s82, s82, 0xffffff                               // 00000000A0A4: 8652FF52 00FFFFFF
	s_cmp_lt_u32 s82, s66                                      // 00000000A0AC: BF0A4252
	s_cselect_b32 s20, s36, s60                                // 00000000A0B0: 85143C24
	v_readlane_b32 s82, v3, 5                                  // 00000000A0B4: D2890052 00010B03
	s_and_b32 s82, s82, 0xffffff                               // 00000000A0BC: 8652FF52 00FFFFFF
	s_cmp_lt_u32 s82, s66                                      // 00000000A0C4: BF0A4252
	s_cselect_b32 s21, s36, s60                                // 00000000A0C8: 85153C24
	s_mov_b64 exec, s[20:21]                                   // 00000000A0CC: BEFE0114
	buffer_store_dword v86, v6, s[8:11], 0 offen               // 00000000A0D0: E0701000 80025606
	s_mov_b64 exec, s[36:37]                                   // 00000000A0D8: BEFE0124
	v_mov_b32_e32 v6, v67                                      // 00000000A0DC: 7E0C0343
	s_mov_b64 s[60:61], 0                                      // 00000000A0E0: BEBC0180
	v_readlane_b32 s82, v3, 6                                  // 00000000A0E4: D2890052 00010D03
	s_and_b32 s82, s82, 0xffffff                               // 00000000A0EC: 8652FF52 00FFFFFF
	s_cmp_lt_u32 s82, s66                                      // 00000000A0F4: BF0A4252
	s_cselect_b32 s20, s36, s60                                // 00000000A0F8: 85143C24
	v_readlane_b32 s82, v3, 7                                  // 00000000A0FC: D2890052 00010F03
	s_and_b32 s82, s82, 0xffffff                               // 00000000A104: 8652FF52 00FFFFFF
	s_cmp_lt_u32 s82, s66                                      // 00000000A10C: BF0A4252
	s_cselect_b32 s21, s36, s60                                // 00000000A110: 85153C24
	s_mov_b64 exec, s[20:21]                                   // 00000000A114: BEFE0114
	buffer_store_dword v87, v6, s[8:11], 0 offen               // 00000000A118: E0701000 80025706
	s_mov_b64 exec, s[36:37]                                   // 00000000A120: BEFE0124
	v_mov_b32_e32 v6, v68                                      // 00000000A124: 7E0C0344
	s_mov_b64 s[60:61], 0                                      // 00000000A128: BEBC0180
	v_readlane_b32 s82, v3, 8                                  // 00000000A12C: D2890052 00011103
	s_and_b32 s82, s82, 0xffffff                               // 00000000A134: 8652FF52 00FFFFFF
	s_cmp_lt_u32 s82, s66                                      // 00000000A13C: BF0A4252
	s_cselect_b32 s20, s36, s60                                // 00000000A140: 85143C24
	v_readlane_b32 s82, v3, 9                                  // 00000000A144: D2890052 00011303
	s_and_b32 s82, s82, 0xffffff                               // 00000000A14C: 8652FF52 00FFFFFF
	s_cmp_lt_u32 s82, s66                                      // 00000000A154: BF0A4252
	s_cselect_b32 s21, s36, s60                                // 00000000A158: 85153C24
	s_mov_b64 exec, s[20:21]                                   // 00000000A15C: BEFE0114
	buffer_store_dword v88, v6, s[8:11], 0 offen               // 00000000A160: E0701000 80025806
	s_mov_b64 exec, s[36:37]                                   // 00000000A168: BEFE0124
	v_mov_b32_e32 v6, v69                                      // 00000000A16C: 7E0C0345
	s_mov_b64 s[60:61], 0                                      // 00000000A170: BEBC0180
	v_readlane_b32 s82, v3, 10                                 // 00000000A174: D2890052 00011503
	s_and_b32 s82, s82, 0xffffff                               // 00000000A17C: 8652FF52 00FFFFFF
	s_cmp_lt_u32 s82, s66                                      // 00000000A184: BF0A4252
	s_cselect_b32 s20, s36, s60                                // 00000000A188: 85143C24
	v_readlane_b32 s82, v3, 11                                 // 00000000A18C: D2890052 00011703
	s_and_b32 s82, s82, 0xffffff                               // 00000000A194: 8652FF52 00FFFFFF
	s_cmp_lt_u32 s82, s66                                      // 00000000A19C: BF0A4252
	s_cselect_b32 s21, s36, s60                                // 00000000A1A0: 85153C24
	s_mov_b64 exec, s[20:21]                                   // 00000000A1A4: BEFE0114
	buffer_store_dword v89, v6, s[8:11], 0 offen               // 00000000A1A8: E0701000 80025906
	s_mov_b64 exec, s[36:37]                                   // 00000000A1B0: BEFE0124
	v_mov_b32_e32 v6, v70                                      // 00000000A1B4: 7E0C0346
	s_mov_b64 s[60:61], 0                                      // 00000000A1B8: BEBC0180
	v_readlane_b32 s82, v3, 12                                 // 00000000A1BC: D2890052 00011903
	s_and_b32 s82, s82, 0xffffff                               // 00000000A1C4: 8652FF52 00FFFFFF
	s_cmp_lt_u32 s82, s66                                      // 00000000A1CC: BF0A4252
	s_cselect_b32 s20, s36, s60                                // 00000000A1D0: 85143C24
	v_readlane_b32 s82, v3, 13                                 // 00000000A1D4: D2890052 00011B03
	s_and_b32 s82, s82, 0xffffff                               // 00000000A1DC: 8652FF52 00FFFFFF
	s_cmp_lt_u32 s82, s66                                      // 00000000A1E4: BF0A4252
	s_cselect_b32 s21, s36, s60                                // 00000000A1E8: 85153C24
	s_mov_b64 exec, s[20:21]                                   // 00000000A1EC: BEFE0114
	buffer_store_dword v90, v6, s[8:11], 0 offen               // 00000000A1F0: E0701000 80025A06
	s_mov_b64 exec, s[36:37]                                   // 00000000A1F8: BEFE0124
	v_mov_b32_e32 v6, v71                                      // 00000000A1FC: 7E0C0347
	s_mov_b64 s[60:61], 0                                      // 00000000A200: BEBC0180
	v_readlane_b32 s82, v3, 14                                 // 00000000A204: D2890052 00011D03
	s_and_b32 s82, s82, 0xffffff                               // 00000000A20C: 8652FF52 00FFFFFF
	s_cmp_lt_u32 s82, s66                                      // 00000000A214: BF0A4252
	s_cselect_b32 s20, s36, s60                                // 00000000A218: 85143C24
	v_readlane_b32 s82, v3, 15                                 // 00000000A21C: D2890052 00011F03
	s_and_b32 s82, s82, 0xffffff                               // 00000000A224: 8652FF52 00FFFFFF
	s_cmp_lt_u32 s82, s66                                      // 00000000A22C: BF0A4252
	s_cselect_b32 s21, s36, s60                                // 00000000A230: 85153C24
	s_mov_b64 exec, s[20:21]                                   // 00000000A234: BEFE0114
	buffer_store_dword v91, v6, s[8:11], 0 offen               // 00000000A238: E0701000 80025B06
	s_mov_b64 exec, s[36:37]                                   // 00000000A240: BEFE0124
	v_mov_b32_e32 v6, v72                                      // 00000000A244: 7E0C0348
	s_mov_b64 s[60:61], 0                                      // 00000000A248: BEBC0180
	v_readlane_b32 s82, v3, 16                                 // 00000000A24C: D2890052 00012103
	s_and_b32 s82, s82, 0xffffff                               // 00000000A254: 8652FF52 00FFFFFF
	s_cmp_lt_u32 s82, s66                                      // 00000000A25C: BF0A4252
	s_cselect_b32 s20, s36, s60                                // 00000000A260: 85143C24
	v_readlane_b32 s82, v3, 17                                 // 00000000A264: D2890052 00012303
	s_and_b32 s82, s82, 0xffffff                               // 00000000A26C: 8652FF52 00FFFFFF
	s_cmp_lt_u32 s82, s66                                      // 00000000A274: BF0A4252
	s_cselect_b32 s21, s36, s60                                // 00000000A278: 85153C24
	s_mov_b64 exec, s[20:21]                                   // 00000000A27C: BEFE0114
	buffer_store_dword v92, v6, s[8:11], 0 offen               // 00000000A280: E0701000 80025C06
	s_mov_b64 exec, s[36:37]                                   // 00000000A288: BEFE0124
	v_mov_b32_e32 v6, v73                                      // 00000000A28C: 7E0C0349
	s_mov_b64 s[60:61], 0                                      // 00000000A290: BEBC0180
	v_readlane_b32 s82, v3, 18                                 // 00000000A294: D2890052 00012503
	s_and_b32 s82, s82, 0xffffff                               // 00000000A29C: 8652FF52 00FFFFFF
	s_cmp_lt_u32 s82, s66                                      // 00000000A2A4: BF0A4252
	s_cselect_b32 s20, s36, s60                                // 00000000A2A8: 85143C24
	v_readlane_b32 s82, v3, 19                                 // 00000000A2AC: D2890052 00012703
	s_and_b32 s82, s82, 0xffffff                               // 00000000A2B4: 8652FF52 00FFFFFF
	s_cmp_lt_u32 s82, s66                                      // 00000000A2BC: BF0A4252
	s_cselect_b32 s21, s36, s60                                // 00000000A2C0: 85153C24
	s_mov_b64 exec, s[20:21]                                   // 00000000A2C4: BEFE0114
	buffer_store_dword v93, v6, s[8:11], 0 offen               // 00000000A2C8: E0701000 80025D06
	s_mov_b64 exec, s[36:37]                                   // 00000000A2D0: BEFE0124
	v_mov_b32_e32 v6, v74                                      // 00000000A2D4: 7E0C034A
	s_mov_b64 s[60:61], 0                                      // 00000000A2D8: BEBC0180
	v_readlane_b32 s82, v3, 20                                 // 00000000A2DC: D2890052 00012903
	s_and_b32 s82, s82, 0xffffff                               // 00000000A2E4: 8652FF52 00FFFFFF
	s_cmp_lt_u32 s82, s66                                      // 00000000A2EC: BF0A4252
	s_cselect_b32 s20, s36, s60                                // 00000000A2F0: 85143C24
	v_readlane_b32 s82, v3, 21                                 // 00000000A2F4: D2890052 00012B03
	s_and_b32 s82, s82, 0xffffff                               // 00000000A2FC: 8652FF52 00FFFFFF
	s_cmp_lt_u32 s82, s66                                      // 00000000A304: BF0A4252
	s_cselect_b32 s21, s36, s60                                // 00000000A308: 85153C24
	s_mov_b64 exec, s[20:21]                                   // 00000000A30C: BEFE0114
	buffer_store_dword v94, v6, s[8:11], 0 offen               // 00000000A310: E0701000 80025E06
	s_mov_b64 exec, s[36:37]                                   // 00000000A318: BEFE0124
	v_mov_b32_e32 v6, v75                                      // 00000000A31C: 7E0C034B
	s_mov_b64 s[60:61], 0                                      // 00000000A320: BEBC0180
	v_readlane_b32 s82, v3, 22                                 // 00000000A324: D2890052 00012D03
	s_and_b32 s82, s82, 0xffffff                               // 00000000A32C: 8652FF52 00FFFFFF
	s_cmp_lt_u32 s82, s66                                      // 00000000A334: BF0A4252
	s_cselect_b32 s20, s36, s60                                // 00000000A338: 85143C24
	v_readlane_b32 s82, v3, 23                                 // 00000000A33C: D2890052 00012F03
	s_and_b32 s82, s82, 0xffffff                               // 00000000A344: 8652FF52 00FFFFFF
	s_cmp_lt_u32 s82, s66                                      // 00000000A34C: BF0A4252
	s_cselect_b32 s21, s36, s60                                // 00000000A350: 85153C24
	s_mov_b64 exec, s[20:21]                                   // 00000000A354: BEFE0114
	buffer_store_dword v95, v6, s[8:11], 0 offen               // 00000000A358: E0701000 80025F06
	s_mov_b64 exec, s[36:37]                                   // 00000000A360: BEFE0124
	v_mov_b32_e32 v6, v76                                      // 00000000A364: 7E0C034C
	s_mov_b64 s[60:61], 0                                      // 00000000A368: BEBC0180
	v_readlane_b32 s82, v3, 24                                 // 00000000A36C: D2890052 00013103
	s_and_b32 s82, s82, 0xffffff                               // 00000000A374: 8652FF52 00FFFFFF
	s_cmp_lt_u32 s82, s66                                      // 00000000A37C: BF0A4252
	s_cselect_b32 s20, s36, s60                                // 00000000A380: 85143C24
	v_readlane_b32 s82, v3, 25                                 // 00000000A384: D2890052 00013303
	s_and_b32 s82, s82, 0xffffff                               // 00000000A38C: 8652FF52 00FFFFFF
	s_cmp_lt_u32 s82, s66                                      // 00000000A394: BF0A4252
	s_cselect_b32 s21, s36, s60                                // 00000000A398: 85153C24
	s_mov_b64 exec, s[20:21]                                   // 00000000A39C: BEFE0114
	buffer_store_dword v96, v6, s[8:11], 0 offen               // 00000000A3A0: E0701000 80026006
	s_mov_b64 exec, s[36:37]                                   // 00000000A3A8: BEFE0124
	v_mov_b32_e32 v6, v77                                      // 00000000A3AC: 7E0C034D
	s_mov_b64 s[60:61], 0                                      // 00000000A3B0: BEBC0180
	v_readlane_b32 s82, v3, 26                                 // 00000000A3B4: D2890052 00013503
	s_and_b32 s82, s82, 0xffffff                               // 00000000A3BC: 8652FF52 00FFFFFF
	s_cmp_lt_u32 s82, s66                                      // 00000000A3C4: BF0A4252
	s_cselect_b32 s20, s36, s60                                // 00000000A3C8: 85143C24
	v_readlane_b32 s82, v3, 27                                 // 00000000A3CC: D2890052 00013703
	s_and_b32 s82, s82, 0xffffff                               // 00000000A3D4: 8652FF52 00FFFFFF
	s_cmp_lt_u32 s82, s66                                      // 00000000A3DC: BF0A4252
	s_cselect_b32 s21, s36, s60                                // 00000000A3E0: 85153C24
	s_mov_b64 exec, s[20:21]                                   // 00000000A3E4: BEFE0114
	buffer_store_dword v97, v6, s[8:11], 0 offen               // 00000000A3E8: E0701000 80026106
	s_mov_b64 exec, s[36:37]                                   // 00000000A3F0: BEFE0124
	v_mov_b32_e32 v6, v78                                      // 00000000A3F4: 7E0C034E
	s_mov_b64 s[60:61], 0                                      // 00000000A3F8: BEBC0180
	v_readlane_b32 s82, v3, 28                                 // 00000000A3FC: D2890052 00013903
	s_and_b32 s82, s82, 0xffffff                               // 00000000A404: 8652FF52 00FFFFFF
	s_cmp_lt_u32 s82, s66                                      // 00000000A40C: BF0A4252
	s_cselect_b32 s20, s36, s60                                // 00000000A410: 85143C24
	v_readlane_b32 s82, v3, 29                                 // 00000000A414: D2890052 00013B03
	s_and_b32 s82, s82, 0xffffff                               // 00000000A41C: 8652FF52 00FFFFFF
	s_cmp_lt_u32 s82, s66                                      // 00000000A424: BF0A4252
	s_cselect_b32 s21, s36, s60                                // 00000000A428: 85153C24
	s_mov_b64 exec, s[20:21]                                   // 00000000A42C: BEFE0114
	buffer_store_dword v98, v6, s[8:11], 0 offen               // 00000000A430: E0701000 80026206
	s_mov_b64 exec, s[36:37]                                   // 00000000A438: BEFE0124
	v_mov_b32_e32 v6, v79                                      // 00000000A43C: 7E0C034F
	s_mov_b64 s[60:61], 0                                      // 00000000A440: BEBC0180
	v_readlane_b32 s82, v3, 30                                 // 00000000A444: D2890052 00013D03
	s_and_b32 s82, s82, 0xffffff                               // 00000000A44C: 8652FF52 00FFFFFF
	s_cmp_lt_u32 s82, s66                                      // 00000000A454: BF0A4252
	s_cselect_b32 s20, s36, s60                                // 00000000A458: 85143C24
	v_readlane_b32 s82, v3, 31                                 // 00000000A45C: D2890052 00013F03
	s_and_b32 s82, s82, 0xffffff                               // 00000000A464: 8652FF52 00FFFFFF
	s_cmp_lt_u32 s82, s66                                      // 00000000A46C: BF0A4252
	s_cselect_b32 s21, s36, s60                                // 00000000A470: 85153C24
	s_mov_b64 exec, s[20:21]                                   // 00000000A474: BEFE0114
	buffer_store_dword v99, v6, s[8:11], 0 offen               // 00000000A478: E0701000 80026306
	s_mov_b64 exec, s[36:37]                                   // 00000000A480: BEFE0124
	v_mov_b32_e32 v6, v80                                      // 00000000A484: 7E0C0350
	s_mov_b64 s[60:61], 0                                      // 00000000A488: BEBC0180
	v_readlane_b32 s82, v3, 32                                 // 00000000A48C: D2890052 00014103
	s_and_b32 s82, s82, 0xffffff                               // 00000000A494: 8652FF52 00FFFFFF
	s_cmp_lt_u32 s82, s66                                      // 00000000A49C: BF0A4252
	s_cselect_b32 s20, s36, s60                                // 00000000A4A0: 85143C24
	v_readlane_b32 s82, v3, 33                                 // 00000000A4A4: D2890052 00014303
	s_and_b32 s82, s82, 0xffffff                               // 00000000A4AC: 8652FF52 00FFFFFF
	s_cmp_lt_u32 s82, s66                                      // 00000000A4B4: BF0A4252
	s_cselect_b32 s21, s36, s60                                // 00000000A4B8: 85153C24
	s_mov_b64 exec, s[20:21]                                   // 00000000A4BC: BEFE0114
	buffer_store_dword v100, v6, s[8:11], 0 offen              // 00000000A4C0: E0701000 80026406
	s_mov_b64 exec, s[36:37]                                   // 00000000A4C8: BEFE0124
	v_mov_b32_e32 v6, v81                                      // 00000000A4CC: 7E0C0351
	s_mov_b64 s[60:61], 0                                      // 00000000A4D0: BEBC0180
	v_readlane_b32 s82, v3, 34                                 // 00000000A4D4: D2890052 00014503
	s_and_b32 s82, s82, 0xffffff                               // 00000000A4DC: 8652FF52 00FFFFFF
	s_cmp_lt_u32 s82, s66                                      // 00000000A4E4: BF0A4252
	s_cselect_b32 s20, s36, s60                                // 00000000A4E8: 85143C24
	v_readlane_b32 s82, v3, 35                                 // 00000000A4EC: D2890052 00014703
	s_and_b32 s82, s82, 0xffffff                               // 00000000A4F4: 8652FF52 00FFFFFF
	s_cmp_lt_u32 s82, s66                                      // 00000000A4FC: BF0A4252
	s_cselect_b32 s21, s36, s60                                // 00000000A500: 85153C24
	s_mov_b64 exec, s[20:21]                                   // 00000000A504: BEFE0114
	buffer_store_dword v101, v6, s[8:11], 0 offen              // 00000000A508: E0701000 80026506
	s_mov_b64 exec, s[36:37]                                   // 00000000A510: BEFE0124
	s_branch label_2667                                        // 00000000A514: BF82079E

000000000000a518 <label_1EC9>:
	ds_write_b64 v20, v[84:85]                                 // 00000000A518: D89A0000 00005414
	ds_write_b64 v20, v[88:89] offset:2176                     // 00000000A520: D89A0880 00005814
	ds_write_b64 v20, v[92:93] offset:4352                     // 00000000A528: D89A1100 00005C14
	ds_write_b64 v20, v[96:97] offset:6528                     // 00000000A530: D89A1980 00006014
	ds_write_b64 v20, v[100:101] offset:8704                   // 00000000A538: D89A2200 00006414
	ds_write_b64 v20, v[104:105] offset:10880                  // 00000000A540: D89A2A80 00006814
	ds_write_b64 v20, v[108:109] offset:13056                  // 00000000A548: D89A3300 00006C14
	ds_write_b64 v20, v[112:113] offset:15232                  // 00000000A550: D89A3B80 00007014
	ds_write_b64 v20, v[116:117] offset:17408                  // 00000000A558: D89A4400 00007414
	v_lshrrev_b32_e32 v4, 5, v0                                // 00000000A560: 20080085
	v_xor_b32_e32 v5, 1, v4                                    // 00000000A564: 2A0A0881
	s_mul_i32 s60, s65, 2                                      // 00000000A568: 923C8241
	s_cmp_eq_u32 s88, 0                                        // 00000000A56C: BF068058
	s_cselect_b32 s61, 1, 4                                    // 00000000A570: 853D8481
	s_mul_i32 s60, s61, s60                                    // 00000000A574: 923C3C3D
	v_readlane_b32 s82, v3, 0                                  // 00000000A578: D2890052 00010103
	s_lshr_b32 s61, s82, 24                                    // 00000000A580: 8F3D9852
	s_and_b32 s82, s82, 0xffffff                               // 00000000A584: 8652FF52 00FFFFFF
	s_mul_i32 s82, s82, s71                                    // 00000000A58C: 92524752
	s_mul_i32 s61, s60, s61                                    // 00000000A590: 923D3D3C
	s_add_u32 s82, s82, s61                                    // 00000000A594: 80523D52
	v_mul_lo_u32 v6, v5, s82                                   // 00000000A598: D2850006 0000A505
	v_readlane_b32 s82, v3, 1                                  // 00000000A5A0: D2890052 00010303
	s_lshr_b32 s61, s82, 24                                    // 00000000A5A8: 8F3D9852
	s_and_b32 s82, s82, 0xffffff                               // 00000000A5AC: 8652FF52 00FFFFFF
	s_mul_i32 s82, s82, s71                                    // 00000000A5B4: 92524752
	s_mul_i32 s61, s60, s61                                    // 00000000A5B8: 923D3D3C
	s_add_u32 s82, s82, s61                                    // 00000000A5BC: 80523D52
	v_mul_lo_u32 v7, v4, s82                                   // 00000000A5C0: D2850007 0000A504
	v_add_u32_e32 v64, v6, v7                                  // 00000000A5C8: 68800F06
	v_readlane_b32 s82, v3, 2                                  // 00000000A5CC: D2890052 00010503
	s_lshr_b32 s61, s82, 24                                    // 00000000A5D4: 8F3D9852
	s_and_b32 s82, s82, 0xffffff                               // 00000000A5D8: 8652FF52 00FFFFFF
	s_mul_i32 s82, s82, s71                                    // 00000000A5E0: 92524752
	s_mul_i32 s61, s60, s61                                    // 00000000A5E4: 923D3D3C
	s_add_u32 s82, s82, s61                                    // 00000000A5E8: 80523D52
	v_mul_lo_u32 v6, v5, s82                                   // 00000000A5EC: D2850006 0000A505
	v_readlane_b32 s82, v3, 3                                  // 00000000A5F4: D2890052 00010703
	s_lshr_b32 s61, s82, 24                                    // 00000000A5FC: 8F3D9852
	s_and_b32 s82, s82, 0xffffff                               // 00000000A600: 8652FF52 00FFFFFF
	s_mul_i32 s82, s82, s71                                    // 00000000A608: 92524752
	s_mul_i32 s61, s60, s61                                    // 00000000A60C: 923D3D3C
	s_add_u32 s82, s82, s61                                    // 00000000A610: 80523D52
	v_mul_lo_u32 v7, v4, s82                                   // 00000000A614: D2850007 0000A504
	v_add_u32_e32 v65, v6, v7                                  // 00000000A61C: 68820F06
	v_readlane_b32 s82, v3, 4                                  // 00000000A620: D2890052 00010903
	s_lshr_b32 s61, s82, 24                                    // 00000000A628: 8F3D9852
	s_and_b32 s82, s82, 0xffffff                               // 00000000A62C: 8652FF52 00FFFFFF
	s_mul_i32 s82, s82, s71                                    // 00000000A634: 92524752
	s_mul_i32 s61, s60, s61                                    // 00000000A638: 923D3D3C
	s_add_u32 s82, s82, s61                                    // 00000000A63C: 80523D52
	v_mul_lo_u32 v6, v5, s82                                   // 00000000A640: D2850006 0000A505
	v_readlane_b32 s82, v3, 5                                  // 00000000A648: D2890052 00010B03
	s_lshr_b32 s61, s82, 24                                    // 00000000A650: 8F3D9852
	s_and_b32 s82, s82, 0xffffff                               // 00000000A654: 8652FF52 00FFFFFF
	s_mul_i32 s82, s82, s71                                    // 00000000A65C: 92524752
	s_mul_i32 s61, s60, s61                                    // 00000000A660: 923D3D3C
	s_add_u32 s82, s82, s61                                    // 00000000A664: 80523D52
	v_mul_lo_u32 v7, v4, s82                                   // 00000000A668: D2850007 0000A504
	v_add_u32_e32 v66, v6, v7                                  // 00000000A670: 68840F06
	v_readlane_b32 s82, v3, 6                                  // 00000000A674: D2890052 00010D03
	s_lshr_b32 s61, s82, 24                                    // 00000000A67C: 8F3D9852
	s_and_b32 s82, s82, 0xffffff                               // 00000000A680: 8652FF52 00FFFFFF
	s_mul_i32 s82, s82, s71                                    // 00000000A688: 92524752
	s_mul_i32 s61, s60, s61                                    // 00000000A68C: 923D3D3C
	s_add_u32 s82, s82, s61                                    // 00000000A690: 80523D52
	v_mul_lo_u32 v6, v5, s82                                   // 00000000A694: D2850006 0000A505
	v_readlane_b32 s82, v3, 7                                  // 00000000A69C: D2890052 00010F03
	s_lshr_b32 s61, s82, 24                                    // 00000000A6A4: 8F3D9852
	s_and_b32 s82, s82, 0xffffff                               // 00000000A6A8: 8652FF52 00FFFFFF
	s_mul_i32 s82, s82, s71                                    // 00000000A6B0: 92524752
	s_mul_i32 s61, s60, s61                                    // 00000000A6B4: 923D3D3C
	s_add_u32 s82, s82, s61                                    // 00000000A6B8: 80523D52
	v_mul_lo_u32 v7, v4, s82                                   // 00000000A6BC: D2850007 0000A504
	v_add_u32_e32 v67, v6, v7                                  // 00000000A6C4: 68860F06
	v_readlane_b32 s82, v3, 8                                  // 00000000A6C8: D2890052 00011103
	s_lshr_b32 s61, s82, 24                                    // 00000000A6D0: 8F3D9852
	s_and_b32 s82, s82, 0xffffff                               // 00000000A6D4: 8652FF52 00FFFFFF
	s_mul_i32 s82, s82, s71                                    // 00000000A6DC: 92524752
	s_mul_i32 s61, s60, s61                                    // 00000000A6E0: 923D3D3C
	s_add_u32 s82, s82, s61                                    // 00000000A6E4: 80523D52
	v_mul_lo_u32 v6, v5, s82                                   // 00000000A6E8: D2850006 0000A505
	v_readlane_b32 s82, v3, 9                                  // 00000000A6F0: D2890052 00011303
	s_lshr_b32 s61, s82, 24                                    // 00000000A6F8: 8F3D9852
	s_and_b32 s82, s82, 0xffffff                               // 00000000A6FC: 8652FF52 00FFFFFF
	s_mul_i32 s82, s82, s71                                    // 00000000A704: 92524752
	s_mul_i32 s61, s60, s61                                    // 00000000A708: 923D3D3C
	s_add_u32 s82, s82, s61                                    // 00000000A70C: 80523D52
	v_mul_lo_u32 v7, v4, s82                                   // 00000000A710: D2850007 0000A504
	v_add_u32_e32 v68, v6, v7                                  // 00000000A718: 68880F06
	v_readlane_b32 s82, v3, 10                                 // 00000000A71C: D2890052 00011503
	s_lshr_b32 s61, s82, 24                                    // 00000000A724: 8F3D9852
	s_and_b32 s82, s82, 0xffffff                               // 00000000A728: 8652FF52 00FFFFFF
	s_mul_i32 s82, s82, s71                                    // 00000000A730: 92524752
	s_mul_i32 s61, s60, s61                                    // 00000000A734: 923D3D3C
	s_add_u32 s82, s82, s61                                    // 00000000A738: 80523D52
	v_mul_lo_u32 v6, v5, s82                                   // 00000000A73C: D2850006 0000A505
	v_readlane_b32 s82, v3, 11                                 // 00000000A744: D2890052 00011703
	s_lshr_b32 s61, s82, 24                                    // 00000000A74C: 8F3D9852
	s_and_b32 s82, s82, 0xffffff                               // 00000000A750: 8652FF52 00FFFFFF
	s_mul_i32 s82, s82, s71                                    // 00000000A758: 92524752
	s_mul_i32 s61, s60, s61                                    // 00000000A75C: 923D3D3C
	s_add_u32 s82, s82, s61                                    // 00000000A760: 80523D52
	v_mul_lo_u32 v7, v4, s82                                   // 00000000A764: D2850007 0000A504
	v_add_u32_e32 v69, v6, v7                                  // 00000000A76C: 688A0F06
	v_readlane_b32 s82, v3, 12                                 // 00000000A770: D2890052 00011903
	s_lshr_b32 s61, s82, 24                                    // 00000000A778: 8F3D9852
	s_and_b32 s82, s82, 0xffffff                               // 00000000A77C: 8652FF52 00FFFFFF
	s_mul_i32 s82, s82, s71                                    // 00000000A784: 92524752
	s_mul_i32 s61, s60, s61                                    // 00000000A788: 923D3D3C
	s_add_u32 s82, s82, s61                                    // 00000000A78C: 80523D52
	v_mul_lo_u32 v6, v5, s82                                   // 00000000A790: D2850006 0000A505
	v_readlane_b32 s82, v3, 13                                 // 00000000A798: D2890052 00011B03
	s_lshr_b32 s61, s82, 24                                    // 00000000A7A0: 8F3D9852
	s_and_b32 s82, s82, 0xffffff                               // 00000000A7A4: 8652FF52 00FFFFFF
	s_mul_i32 s82, s82, s71                                    // 00000000A7AC: 92524752
	s_mul_i32 s61, s60, s61                                    // 00000000A7B0: 923D3D3C
	s_add_u32 s82, s82, s61                                    // 00000000A7B4: 80523D52
	v_mul_lo_u32 v7, v4, s82                                   // 00000000A7B8: D2850007 0000A504
	v_add_u32_e32 v70, v6, v7                                  // 00000000A7C0: 688C0F06
	v_readlane_b32 s82, v3, 14                                 // 00000000A7C4: D2890052 00011D03
	s_lshr_b32 s61, s82, 24                                    // 00000000A7CC: 8F3D9852
	s_and_b32 s82, s82, 0xffffff                               // 00000000A7D0: 8652FF52 00FFFFFF
	s_mul_i32 s82, s82, s71                                    // 00000000A7D8: 92524752
	s_mul_i32 s61, s60, s61                                    // 00000000A7DC: 923D3D3C
	s_add_u32 s82, s82, s61                                    // 00000000A7E0: 80523D52
	v_mul_lo_u32 v6, v5, s82                                   // 00000000A7E4: D2850006 0000A505
	v_readlane_b32 s82, v3, 15                                 // 00000000A7EC: D2890052 00011F03
	s_lshr_b32 s61, s82, 24                                    // 00000000A7F4: 8F3D9852
	s_and_b32 s82, s82, 0xffffff                               // 00000000A7F8: 8652FF52 00FFFFFF
	s_mul_i32 s82, s82, s71                                    // 00000000A800: 92524752
	s_mul_i32 s61, s60, s61                                    // 00000000A804: 923D3D3C
	s_add_u32 s82, s82, s61                                    // 00000000A808: 80523D52
	v_mul_lo_u32 v7, v4, s82                                   // 00000000A80C: D2850007 0000A504
	v_add_u32_e32 v71, v6, v7                                  // 00000000A814: 688E0F06
	v_readlane_b32 s82, v3, 16                                 // 00000000A818: D2890052 00012103
	s_lshr_b32 s61, s82, 24                                    // 00000000A820: 8F3D9852
	s_and_b32 s82, s82, 0xffffff                               // 00000000A824: 8652FF52 00FFFFFF
	s_mul_i32 s82, s82, s71                                    // 00000000A82C: 92524752
	s_mul_i32 s61, s60, s61                                    // 00000000A830: 923D3D3C
	s_add_u32 s82, s82, s61                                    // 00000000A834: 80523D52
	v_mul_lo_u32 v6, v5, s82                                   // 00000000A838: D2850006 0000A505
	v_readlane_b32 s82, v3, 17                                 // 00000000A840: D2890052 00012303
	s_lshr_b32 s61, s82, 24                                    // 00000000A848: 8F3D9852
	s_and_b32 s82, s82, 0xffffff                               // 00000000A84C: 8652FF52 00FFFFFF
	s_mul_i32 s82, s82, s71                                    // 00000000A854: 92524752
	s_mul_i32 s61, s60, s61                                    // 00000000A858: 923D3D3C
	s_add_u32 s82, s82, s61                                    // 00000000A85C: 80523D52
	v_mul_lo_u32 v7, v4, s82                                   // 00000000A860: D2850007 0000A504
	v_add_u32_e32 v72, v6, v7                                  // 00000000A868: 68900F06
	v_readlane_b32 s82, v3, 18                                 // 00000000A86C: D2890052 00012503
	s_lshr_b32 s61, s82, 24                                    // 00000000A874: 8F3D9852
	s_and_b32 s82, s82, 0xffffff                               // 00000000A878: 8652FF52 00FFFFFF
	s_mul_i32 s82, s82, s71                                    // 00000000A880: 92524752
	s_mul_i32 s61, s60, s61                                    // 00000000A884: 923D3D3C
	s_add_u32 s82, s82, s61                                    // 00000000A888: 80523D52
	v_mul_lo_u32 v6, v5, s82                                   // 00000000A88C: D2850006 0000A505
	v_readlane_b32 s82, v3, 19                                 // 00000000A894: D2890052 00012703
	s_lshr_b32 s61, s82, 24                                    // 00000000A89C: 8F3D9852
	s_and_b32 s82, s82, 0xffffff                               // 00000000A8A0: 8652FF52 00FFFFFF
	s_mul_i32 s82, s82, s71                                    // 00000000A8A8: 92524752
	s_mul_i32 s61, s60, s61                                    // 00000000A8AC: 923D3D3C
	s_add_u32 s82, s82, s61                                    // 00000000A8B0: 80523D52
	v_mul_lo_u32 v7, v4, s82                                   // 00000000A8B4: D2850007 0000A504
	v_add_u32_e32 v73, v6, v7                                  // 00000000A8BC: 68920F06
	v_readlane_b32 s82, v3, 20                                 // 00000000A8C0: D2890052 00012903
	s_lshr_b32 s61, s82, 24                                    // 00000000A8C8: 8F3D9852
	s_and_b32 s82, s82, 0xffffff                               // 00000000A8CC: 8652FF52 00FFFFFF
	s_mul_i32 s82, s82, s71                                    // 00000000A8D4: 92524752
	s_mul_i32 s61, s60, s61                                    // 00000000A8D8: 923D3D3C
	s_add_u32 s82, s82, s61                                    // 00000000A8DC: 80523D52
	v_mul_lo_u32 v6, v5, s82                                   // 00000000A8E0: D2850006 0000A505
	v_readlane_b32 s82, v3, 21                                 // 00000000A8E8: D2890052 00012B03
	s_lshr_b32 s61, s82, 24                                    // 00000000A8F0: 8F3D9852
	s_and_b32 s82, s82, 0xffffff                               // 00000000A8F4: 8652FF52 00FFFFFF
	s_mul_i32 s82, s82, s71                                    // 00000000A8FC: 92524752
	s_mul_i32 s61, s60, s61                                    // 00000000A900: 923D3D3C
	s_add_u32 s82, s82, s61                                    // 00000000A904: 80523D52
	v_mul_lo_u32 v7, v4, s82                                   // 00000000A908: D2850007 0000A504
	v_add_u32_e32 v74, v6, v7                                  // 00000000A910: 68940F06
	v_readlane_b32 s82, v3, 22                                 // 00000000A914: D2890052 00012D03
	s_lshr_b32 s61, s82, 24                                    // 00000000A91C: 8F3D9852
	s_and_b32 s82, s82, 0xffffff                               // 00000000A920: 8652FF52 00FFFFFF
	s_mul_i32 s82, s82, s71                                    // 00000000A928: 92524752
	s_mul_i32 s61, s60, s61                                    // 00000000A92C: 923D3D3C
	s_add_u32 s82, s82, s61                                    // 00000000A930: 80523D52
	v_mul_lo_u32 v6, v5, s82                                   // 00000000A934: D2850006 0000A505
	v_readlane_b32 s82, v3, 23                                 // 00000000A93C: D2890052 00012F03
	s_lshr_b32 s61, s82, 24                                    // 00000000A944: 8F3D9852
	s_and_b32 s82, s82, 0xffffff                               // 00000000A948: 8652FF52 00FFFFFF
	s_mul_i32 s82, s82, s71                                    // 00000000A950: 92524752
	s_mul_i32 s61, s60, s61                                    // 00000000A954: 923D3D3C
	s_add_u32 s82, s82, s61                                    // 00000000A958: 80523D52
	v_mul_lo_u32 v7, v4, s82                                   // 00000000A95C: D2850007 0000A504
	v_add_u32_e32 v75, v6, v7                                  // 00000000A964: 68960F06
	v_readlane_b32 s82, v3, 24                                 // 00000000A968: D2890052 00013103
	s_lshr_b32 s61, s82, 24                                    // 00000000A970: 8F3D9852
	s_and_b32 s82, s82, 0xffffff                               // 00000000A974: 8652FF52 00FFFFFF
	s_mul_i32 s82, s82, s71                                    // 00000000A97C: 92524752
	s_mul_i32 s61, s60, s61                                    // 00000000A980: 923D3D3C
	s_add_u32 s82, s82, s61                                    // 00000000A984: 80523D52
	v_mul_lo_u32 v6, v5, s82                                   // 00000000A988: D2850006 0000A505
	v_readlane_b32 s82, v3, 25                                 // 00000000A990: D2890052 00013303
	s_lshr_b32 s61, s82, 24                                    // 00000000A998: 8F3D9852
	s_and_b32 s82, s82, 0xffffff                               // 00000000A99C: 8652FF52 00FFFFFF
	s_mul_i32 s82, s82, s71                                    // 00000000A9A4: 92524752
	s_mul_i32 s61, s60, s61                                    // 00000000A9A8: 923D3D3C
	s_add_u32 s82, s82, s61                                    // 00000000A9AC: 80523D52
	v_mul_lo_u32 v7, v4, s82                                   // 00000000A9B0: D2850007 0000A504
	v_add_u32_e32 v76, v6, v7                                  // 00000000A9B8: 68980F06
	v_readlane_b32 s82, v3, 26                                 // 00000000A9BC: D2890052 00013503
	s_lshr_b32 s61, s82, 24                                    // 00000000A9C4: 8F3D9852
	s_and_b32 s82, s82, 0xffffff                               // 00000000A9C8: 8652FF52 00FFFFFF
	s_mul_i32 s82, s82, s71                                    // 00000000A9D0: 92524752
	s_mul_i32 s61, s60, s61                                    // 00000000A9D4: 923D3D3C
	s_add_u32 s82, s82, s61                                    // 00000000A9D8: 80523D52
	v_mul_lo_u32 v6, v5, s82                                   // 00000000A9DC: D2850006 0000A505
	v_readlane_b32 s82, v3, 27                                 // 00000000A9E4: D2890052 00013703
	s_lshr_b32 s61, s82, 24                                    // 00000000A9EC: 8F3D9852
	s_and_b32 s82, s82, 0xffffff                               // 00000000A9F0: 8652FF52 00FFFFFF
	s_mul_i32 s82, s82, s71                                    // 00000000A9F8: 92524752
	s_mul_i32 s61, s60, s61                                    // 00000000A9FC: 923D3D3C
	s_add_u32 s82, s82, s61                                    // 00000000AA00: 80523D52
	v_mul_lo_u32 v7, v4, s82                                   // 00000000AA04: D2850007 0000A504
	v_add_u32_e32 v77, v6, v7                                  // 00000000AA0C: 689A0F06
	v_readlane_b32 s82, v3, 28                                 // 00000000AA10: D2890052 00013903
	s_lshr_b32 s61, s82, 24                                    // 00000000AA18: 8F3D9852
	s_and_b32 s82, s82, 0xffffff                               // 00000000AA1C: 8652FF52 00FFFFFF
	s_mul_i32 s82, s82, s71                                    // 00000000AA24: 92524752
	s_mul_i32 s61, s60, s61                                    // 00000000AA28: 923D3D3C
	s_add_u32 s82, s82, s61                                    // 00000000AA2C: 80523D52
	v_mul_lo_u32 v6, v5, s82                                   // 00000000AA30: D2850006 0000A505
	v_readlane_b32 s82, v3, 29                                 // 00000000AA38: D2890052 00013B03
	s_lshr_b32 s61, s82, 24                                    // 00000000AA40: 8F3D9852
	s_and_b32 s82, s82, 0xffffff                               // 00000000AA44: 8652FF52 00FFFFFF
	s_mul_i32 s82, s82, s71                                    // 00000000AA4C: 92524752
	s_mul_i32 s61, s60, s61                                    // 00000000AA50: 923D3D3C
	s_add_u32 s82, s82, s61                                    // 00000000AA54: 80523D52
	v_mul_lo_u32 v7, v4, s82                                   // 00000000AA58: D2850007 0000A504
	v_add_u32_e32 v78, v6, v7                                  // 00000000AA60: 689C0F06
	v_readlane_b32 s82, v3, 30                                 // 00000000AA64: D2890052 00013D03
	s_lshr_b32 s61, s82, 24                                    // 00000000AA6C: 8F3D9852
	s_and_b32 s82, s82, 0xffffff                               // 00000000AA70: 8652FF52 00FFFFFF
	s_mul_i32 s82, s82, s71                                    // 00000000AA78: 92524752
	s_mul_i32 s61, s60, s61                                    // 00000000AA7C: 923D3D3C
	s_add_u32 s82, s82, s61                                    // 00000000AA80: 80523D52
	v_mul_lo_u32 v6, v5, s82                                   // 00000000AA84: D2850006 0000A505
	v_readlane_b32 s82, v3, 31                                 // 00000000AA8C: D2890052 00013F03
	s_lshr_b32 s61, s82, 24                                    // 00000000AA94: 8F3D9852
	s_and_b32 s82, s82, 0xffffff                               // 00000000AA98: 8652FF52 00FFFFFF
	s_mul_i32 s82, s82, s71                                    // 00000000AAA0: 92524752
	s_mul_i32 s61, s60, s61                                    // 00000000AAA4: 923D3D3C
	s_add_u32 s82, s82, s61                                    // 00000000AAA8: 80523D52
	v_mul_lo_u32 v7, v4, s82                                   // 00000000AAAC: D2850007 0000A504
	v_add_u32_e32 v79, v6, v7                                  // 00000000AAB4: 689E0F06
	v_readlane_b32 s82, v3, 32                                 // 00000000AAB8: D2890052 00014103
	s_lshr_b32 s61, s82, 24                                    // 00000000AAC0: 8F3D9852
	s_and_b32 s82, s82, 0xffffff                               // 00000000AAC4: 8652FF52 00FFFFFF
	s_mul_i32 s82, s82, s71                                    // 00000000AACC: 92524752
	s_mul_i32 s61, s60, s61                                    // 00000000AAD0: 923D3D3C
	s_add_u32 s82, s82, s61                                    // 00000000AAD4: 80523D52
	v_mul_lo_u32 v6, v5, s82                                   // 00000000AAD8: D2850006 0000A505
	v_readlane_b32 s82, v3, 33                                 // 00000000AAE0: D2890052 00014303
	s_lshr_b32 s61, s82, 24                                    // 00000000AAE8: 8F3D9852
	s_and_b32 s82, s82, 0xffffff                               // 00000000AAEC: 8652FF52 00FFFFFF
	s_mul_i32 s82, s82, s71                                    // 00000000AAF4: 92524752
	s_mul_i32 s61, s60, s61                                    // 00000000AAF8: 923D3D3C
	s_add_u32 s82, s82, s61                                    // 00000000AAFC: 80523D52
	v_mul_lo_u32 v7, v4, s82                                   // 00000000AB00: D2850007 0000A504
	v_add_u32_e32 v80, v6, v7                                  // 00000000AB08: 68A00F06
	v_readlane_b32 s82, v3, 34                                 // 00000000AB0C: D2890052 00014503
	s_lshr_b32 s61, s82, 24                                    // 00000000AB14: 8F3D9852
	s_and_b32 s82, s82, 0xffffff                               // 00000000AB18: 8652FF52 00FFFFFF
	s_mul_i32 s82, s82, s71                                    // 00000000AB20: 92524752
	s_mul_i32 s61, s60, s61                                    // 00000000AB24: 923D3D3C
	s_add_u32 s82, s82, s61                                    // 00000000AB28: 80523D52
	v_mul_lo_u32 v6, v5, s82                                   // 00000000AB2C: D2850006 0000A505
	v_readlane_b32 s82, v3, 35                                 // 00000000AB34: D2890052 00014703
	s_lshr_b32 s61, s82, 24                                    // 00000000AB3C: 8F3D9852
	s_and_b32 s82, s82, 0xffffff                               // 00000000AB40: 8652FF52 00FFFFFF
	s_mul_i32 s82, s82, s71                                    // 00000000AB48: 92524752
	s_mul_i32 s61, s60, s61                                    // 00000000AB4C: 923D3D3C
	s_add_u32 s82, s82, s61                                    // 00000000AB50: 80523D52
	v_mul_lo_u32 v7, v4, s82                                   // 00000000AB54: D2850007 0000A504
	v_add_u32_e32 v81, v6, v7                                  // 00000000AB5C: 68A20F06
	v_and_b32_e32 v4, 31, v0                                   // 00000000AB60: 2608009F
	v_lshrrev_b32_e32 v4, 1, v4                                // 00000000AB64: 20080881
	s_cmp_eq_u32 s88, 0                                        // 00000000AB68: BF068058
	s_cselect_b32 s61, 2, 4                                    // 00000000AB6C: 853D8482
	v_mul_lo_u32 v4, v4, s61                                   // 00000000AB70: D2850004 00007B04
	v_and_b32_e64 v5, v0, 1                                    // 00000000AB78: D1130005 00010300
	v_add_u32_e32 v4, v4, v5                                   // 00000000AB80: 68080B04
	v_lshlrev_b32_e32 v4, 2, v4                                // 00000000AB84: 24080882
	v_add_u32_e32 v64, v64, v4                                 // 00000000AB88: 68800940
	v_add_u32_e32 v65, v65, v4                                 // 00000000AB8C: 68820941
	v_add_u32_e32 v66, v66, v4                                 // 00000000AB90: 68840942
	v_add_u32_e32 v67, v67, v4                                 // 00000000AB94: 68860943
	v_add_u32_e32 v68, v68, v4                                 // 00000000AB98: 68880944
	v_add_u32_e32 v69, v69, v4                                 // 00000000AB9C: 688A0945
	v_add_u32_e32 v70, v70, v4                                 // 00000000ABA0: 688C0946
	v_add_u32_e32 v71, v71, v4                                 // 00000000ABA4: 688E0947
	v_add_u32_e32 v72, v72, v4                                 // 00000000ABA8: 68900948
	v_add_u32_e32 v73, v73, v4                                 // 00000000ABAC: 68920949
	v_add_u32_e32 v74, v74, v4                                 // 00000000ABB0: 6894094A
	v_add_u32_e32 v75, v75, v4                                 // 00000000ABB4: 6896094B
	v_add_u32_e32 v76, v76, v4                                 // 00000000ABB8: 6898094C
	v_add_u32_e32 v77, v77, v4                                 // 00000000ABBC: 689A094D
	v_add_u32_e32 v78, v78, v4                                 // 00000000ABC0: 689C094E
	v_add_u32_e32 v79, v79, v4                                 // 00000000ABC4: 689E094F
	v_add_u32_e32 v80, v80, v4                                 // 00000000ABC8: 68A00950
	v_add_u32_e32 v81, v81, v4                                 // 00000000ABCC: 68A20951
	s_waitcnt lgkmcnt(0)                                       // 00000000ABD0: BF8CC07F
	s_barrier                                                  // 00000000ABD4: BF8A0000
	ds_read_b32 v84, v21                                       // 00000000ABD8: D86C0000 54000015
	ds_read_b32 v85, v21 offset:64                             // 00000000ABE0: D86C0040 55000015
	ds_read_b32 v88, v21 offset:2176                           // 00000000ABE8: D86C0880 58000015
	ds_read_b32 v89, v21 offset:2240                           // 00000000ABF0: D86C08C0 59000015
	ds_read_b32 v92, v21 offset:4352                           // 00000000ABF8: D86C1100 5C000015
	ds_read_b32 v93, v21 offset:4416                           // 00000000AC00: D86C1140 5D000015
	ds_read_b32 v96, v21 offset:6528                           // 00000000AC08: D86C1980 60000015
	ds_read_b32 v97, v21 offset:6592                           // 00000000AC10: D86C19C0 61000015
	ds_read_b32 v100, v21 offset:8704                          // 00000000AC18: D86C2200 64000015
	ds_read_b32 v101, v21 offset:8768                          // 00000000AC20: D86C2240 65000015
	ds_read_b32 v104, v21 offset:10880                         // 00000000AC28: D86C2A80 68000015
	ds_read_b32 v105, v21 offset:10944                         // 00000000AC30: D86C2AC0 69000015
	ds_read_b32 v108, v21 offset:13056                         // 00000000AC38: D86C3300 6C000015
	ds_read_b32 v109, v21 offset:13120                         // 00000000AC40: D86C3340 6D000015
	ds_read_b32 v112, v21 offset:15232                         // 00000000AC48: D86C3B80 70000015
	ds_read_b32 v113, v21 offset:15296                         // 00000000AC50: D86C3BC0 71000015
	ds_read_b32 v116, v21 offset:17408                         // 00000000AC58: D86C4400 74000015
	ds_read_b32 v117, v21 offset:17472                         // 00000000AC60: D86C4440 75000015
	s_waitcnt lgkmcnt(0)                                       // 00000000AC68: BF8CC07F
	s_mov_b32 s36, -1                                          // 00000000AC6C: BEA400C1
	s_mov_b32 s37, -1                                          // 00000000AC70: BEA500C1
	v_mov_b32_e32 v7, 0                                        // 00000000AC74: 7E0E0280
	s_mov_b64 exec, s[36:37]                                   // 00000000AC78: BEFE0124
	v_mov_b32_e32 v6, v64                                      // 00000000AC7C: 7E0C0340
	s_mov_b64 s[60:61], 0                                      // 00000000AC80: BEBC0180
	v_readlane_b32 s82, v3, 0                                  // 00000000AC84: D2890052 00010103
	s_and_b32 s82, s82, 0xffffff                               // 00000000AC8C: 8652FF52 00FFFFFF
	s_cmp_lt_u32 s82, s66                                      // 00000000AC94: BF0A4252
	s_cselect_b32 s20, s36, s60                                // 00000000AC98: 85143C24
	v_readlane_b32 s82, v3, 1                                  // 00000000AC9C: D2890052 00010303
	s_and_b32 s82, s82, 0xffffff                               // 00000000ACA4: 8652FF52 00FFFFFF
	s_cmp_lt_u32 s82, s66                                      // 00000000ACAC: BF0A4252
	s_cselect_b32 s21, s36, s60                                // 00000000ACB0: 85153C24
	s_mov_b64 exec, s[20:21]                                   // 00000000ACB4: BEFE0114
	global_atomic_add_f32 v6, v84, s[8:9]                      // 00000000ACB8: DD348000 00085406
	s_mov_b64 exec, s[36:37]                                   // 00000000ACC0: BEFE0124
	v_mov_b32_e32 v6, v65                                      // 00000000ACC4: 7E0C0341
	s_mov_b64 s[60:61], 0                                      // 00000000ACC8: BEBC0180
	v_readlane_b32 s82, v3, 2                                  // 00000000ACCC: D2890052 00010503
	s_and_b32 s82, s82, 0xffffff                               // 00000000ACD4: 8652FF52 00FFFFFF
	s_cmp_lt_u32 s82, s66                                      // 00000000ACDC: BF0A4252
	s_cselect_b32 s20, s36, s60                                // 00000000ACE0: 85143C24
	v_readlane_b32 s82, v3, 3                                  // 00000000ACE4: D2890052 00010703
	s_and_b32 s82, s82, 0xffffff                               // 00000000ACEC: 8652FF52 00FFFFFF
	s_cmp_lt_u32 s82, s66                                      // 00000000ACF4: BF0A4252
	s_cselect_b32 s21, s36, s60                                // 00000000ACF8: 85153C24
	s_mov_b64 exec, s[20:21]                                   // 00000000ACFC: BEFE0114
	global_atomic_add_f32 v6, v85, s[8:9]                      // 00000000AD00: DD348000 00085506
	s_mov_b64 exec, s[36:37]                                   // 00000000AD08: BEFE0124
	v_mov_b32_e32 v6, v66                                      // 00000000AD0C: 7E0C0342
	s_mov_b64 s[60:61], 0                                      // 00000000AD10: BEBC0180
	v_readlane_b32 s82, v3, 4                                  // 00000000AD14: D2890052 00010903
	s_and_b32 s82, s82, 0xffffff                               // 00000000AD1C: 8652FF52 00FFFFFF
	s_cmp_lt_u32 s82, s66                                      // 00000000AD24: BF0A4252
	s_cselect_b32 s20, s36, s60                                // 00000000AD28: 85143C24
	v_readlane_b32 s82, v3, 5                                  // 00000000AD2C: D2890052 00010B03
	s_and_b32 s82, s82, 0xffffff                               // 00000000AD34: 8652FF52 00FFFFFF
	s_cmp_lt_u32 s82, s66                                      // 00000000AD3C: BF0A4252
	s_cselect_b32 s21, s36, s60                                // 00000000AD40: 85153C24
	s_mov_b64 exec, s[20:21]                                   // 00000000AD44: BEFE0114
	global_atomic_add_f32 v6, v88, s[8:9]                      // 00000000AD48: DD348000 00085806
	s_mov_b64 exec, s[36:37]                                   // 00000000AD50: BEFE0124
	v_mov_b32_e32 v6, v67                                      // 00000000AD54: 7E0C0343
	s_mov_b64 s[60:61], 0                                      // 00000000AD58: BEBC0180
	v_readlane_b32 s82, v3, 6                                  // 00000000AD5C: D2890052 00010D03
	s_and_b32 s82, s82, 0xffffff                               // 00000000AD64: 8652FF52 00FFFFFF
	s_cmp_lt_u32 s82, s66                                      // 00000000AD6C: BF0A4252
	s_cselect_b32 s20, s36, s60                                // 00000000AD70: 85143C24
	v_readlane_b32 s82, v3, 7                                  // 00000000AD74: D2890052 00010F03
	s_and_b32 s82, s82, 0xffffff                               // 00000000AD7C: 8652FF52 00FFFFFF
	s_cmp_lt_u32 s82, s66                                      // 00000000AD84: BF0A4252
	s_cselect_b32 s21, s36, s60                                // 00000000AD88: 85153C24
	s_mov_b64 exec, s[20:21]                                   // 00000000AD8C: BEFE0114
	global_atomic_add_f32 v6, v89, s[8:9]                      // 00000000AD90: DD348000 00085906
	s_mov_b64 exec, s[36:37]                                   // 00000000AD98: BEFE0124
	v_mov_b32_e32 v6, v68                                      // 00000000AD9C: 7E0C0344
	s_mov_b64 s[60:61], 0                                      // 00000000ADA0: BEBC0180
	v_readlane_b32 s82, v3, 8                                  // 00000000ADA4: D2890052 00011103
	s_and_b32 s82, s82, 0xffffff                               // 00000000ADAC: 8652FF52 00FFFFFF
	s_cmp_lt_u32 s82, s66                                      // 00000000ADB4: BF0A4252
	s_cselect_b32 s20, s36, s60                                // 00000000ADB8: 85143C24
	v_readlane_b32 s82, v3, 9                                  // 00000000ADBC: D2890052 00011303
	s_and_b32 s82, s82, 0xffffff                               // 00000000ADC4: 8652FF52 00FFFFFF
	s_cmp_lt_u32 s82, s66                                      // 00000000ADCC: BF0A4252
	s_cselect_b32 s21, s36, s60                                // 00000000ADD0: 85153C24
	s_mov_b64 exec, s[20:21]                                   // 00000000ADD4: BEFE0114
	global_atomic_add_f32 v6, v92, s[8:9]                      // 00000000ADD8: DD348000 00085C06
	s_mov_b64 exec, s[36:37]                                   // 00000000ADE0: BEFE0124
	v_mov_b32_e32 v6, v69                                      // 00000000ADE4: 7E0C0345
	s_mov_b64 s[60:61], 0                                      // 00000000ADE8: BEBC0180
	v_readlane_b32 s82, v3, 10                                 // 00000000ADEC: D2890052 00011503
	s_and_b32 s82, s82, 0xffffff                               // 00000000ADF4: 8652FF52 00FFFFFF
	s_cmp_lt_u32 s82, s66                                      // 00000000ADFC: BF0A4252
	s_cselect_b32 s20, s36, s60                                // 00000000AE00: 85143C24
	v_readlane_b32 s82, v3, 11                                 // 00000000AE04: D2890052 00011703
	s_and_b32 s82, s82, 0xffffff                               // 00000000AE0C: 8652FF52 00FFFFFF
	s_cmp_lt_u32 s82, s66                                      // 00000000AE14: BF0A4252
	s_cselect_b32 s21, s36, s60                                // 00000000AE18: 85153C24
	s_mov_b64 exec, s[20:21]                                   // 00000000AE1C: BEFE0114
	global_atomic_add_f32 v6, v93, s[8:9]                      // 00000000AE20: DD348000 00085D06
	s_mov_b64 exec, s[36:37]                                   // 00000000AE28: BEFE0124
	v_mov_b32_e32 v6, v70                                      // 00000000AE2C: 7E0C0346
	s_mov_b64 s[60:61], 0                                      // 00000000AE30: BEBC0180
	v_readlane_b32 s82, v3, 12                                 // 00000000AE34: D2890052 00011903
	s_and_b32 s82, s82, 0xffffff                               // 00000000AE3C: 8652FF52 00FFFFFF
	s_cmp_lt_u32 s82, s66                                      // 00000000AE44: BF0A4252
	s_cselect_b32 s20, s36, s60                                // 00000000AE48: 85143C24
	v_readlane_b32 s82, v3, 13                                 // 00000000AE4C: D2890052 00011B03
	s_and_b32 s82, s82, 0xffffff                               // 00000000AE54: 8652FF52 00FFFFFF
	s_cmp_lt_u32 s82, s66                                      // 00000000AE5C: BF0A4252
	s_cselect_b32 s21, s36, s60                                // 00000000AE60: 85153C24
	s_mov_b64 exec, s[20:21]                                   // 00000000AE64: BEFE0114
	global_atomic_add_f32 v6, v96, s[8:9]                      // 00000000AE68: DD348000 00086006
	s_mov_b64 exec, s[36:37]                                   // 00000000AE70: BEFE0124
	v_mov_b32_e32 v6, v71                                      // 00000000AE74: 7E0C0347
	s_mov_b64 s[60:61], 0                                      // 00000000AE78: BEBC0180
	v_readlane_b32 s82, v3, 14                                 // 00000000AE7C: D2890052 00011D03
	s_and_b32 s82, s82, 0xffffff                               // 00000000AE84: 8652FF52 00FFFFFF
	s_cmp_lt_u32 s82, s66                                      // 00000000AE8C: BF0A4252
	s_cselect_b32 s20, s36, s60                                // 00000000AE90: 85143C24
	v_readlane_b32 s82, v3, 15                                 // 00000000AE94: D2890052 00011F03
	s_and_b32 s82, s82, 0xffffff                               // 00000000AE9C: 8652FF52 00FFFFFF
	s_cmp_lt_u32 s82, s66                                      // 00000000AEA4: BF0A4252
	s_cselect_b32 s21, s36, s60                                // 00000000AEA8: 85153C24
	s_mov_b64 exec, s[20:21]                                   // 00000000AEAC: BEFE0114
	global_atomic_add_f32 v6, v97, s[8:9]                      // 00000000AEB0: DD348000 00086106
	s_mov_b64 exec, s[36:37]                                   // 00000000AEB8: BEFE0124
	v_mov_b32_e32 v6, v72                                      // 00000000AEBC: 7E0C0348
	s_mov_b64 s[60:61], 0                                      // 00000000AEC0: BEBC0180
	v_readlane_b32 s82, v3, 16                                 // 00000000AEC4: D2890052 00012103
	s_and_b32 s82, s82, 0xffffff                               // 00000000AECC: 8652FF52 00FFFFFF
	s_cmp_lt_u32 s82, s66                                      // 00000000AED4: BF0A4252
	s_cselect_b32 s20, s36, s60                                // 00000000AED8: 85143C24
	v_readlane_b32 s82, v3, 17                                 // 00000000AEDC: D2890052 00012303
	s_and_b32 s82, s82, 0xffffff                               // 00000000AEE4: 8652FF52 00FFFFFF
	s_cmp_lt_u32 s82, s66                                      // 00000000AEEC: BF0A4252
	s_cselect_b32 s21, s36, s60                                // 00000000AEF0: 85153C24
	s_mov_b64 exec, s[20:21]                                   // 00000000AEF4: BEFE0114
	global_atomic_add_f32 v6, v100, s[8:9]                     // 00000000AEF8: DD348000 00086406
	s_mov_b64 exec, s[36:37]                                   // 00000000AF00: BEFE0124
	v_mov_b32_e32 v6, v73                                      // 00000000AF04: 7E0C0349
	s_mov_b64 s[60:61], 0                                      // 00000000AF08: BEBC0180
	v_readlane_b32 s82, v3, 18                                 // 00000000AF0C: D2890052 00012503
	s_and_b32 s82, s82, 0xffffff                               // 00000000AF14: 8652FF52 00FFFFFF
	s_cmp_lt_u32 s82, s66                                      // 00000000AF1C: BF0A4252
	s_cselect_b32 s20, s36, s60                                // 00000000AF20: 85143C24
	v_readlane_b32 s82, v3, 19                                 // 00000000AF24: D2890052 00012703
	s_and_b32 s82, s82, 0xffffff                               // 00000000AF2C: 8652FF52 00FFFFFF
	s_cmp_lt_u32 s82, s66                                      // 00000000AF34: BF0A4252
	s_cselect_b32 s21, s36, s60                                // 00000000AF38: 85153C24
	s_mov_b64 exec, s[20:21]                                   // 00000000AF3C: BEFE0114
	global_atomic_add_f32 v6, v101, s[8:9]                     // 00000000AF40: DD348000 00086506
	s_mov_b64 exec, s[36:37]                                   // 00000000AF48: BEFE0124
	v_mov_b32_e32 v6, v74                                      // 00000000AF4C: 7E0C034A
	s_mov_b64 s[60:61], 0                                      // 00000000AF50: BEBC0180
	v_readlane_b32 s82, v3, 20                                 // 00000000AF54: D2890052 00012903
	s_and_b32 s82, s82, 0xffffff                               // 00000000AF5C: 8652FF52 00FFFFFF
	s_cmp_lt_u32 s82, s66                                      // 00000000AF64: BF0A4252
	s_cselect_b32 s20, s36, s60                                // 00000000AF68: 85143C24
	v_readlane_b32 s82, v3, 21                                 // 00000000AF6C: D2890052 00012B03
	s_and_b32 s82, s82, 0xffffff                               // 00000000AF74: 8652FF52 00FFFFFF
	s_cmp_lt_u32 s82, s66                                      // 00000000AF7C: BF0A4252
	s_cselect_b32 s21, s36, s60                                // 00000000AF80: 85153C24
	s_mov_b64 exec, s[20:21]                                   // 00000000AF84: BEFE0114
	global_atomic_add_f32 v6, v104, s[8:9]                     // 00000000AF88: DD348000 00086806
	s_mov_b64 exec, s[36:37]                                   // 00000000AF90: BEFE0124
	v_mov_b32_e32 v6, v75                                      // 00000000AF94: 7E0C034B
	s_mov_b64 s[60:61], 0                                      // 00000000AF98: BEBC0180
	v_readlane_b32 s82, v3, 22                                 // 00000000AF9C: D2890052 00012D03
	s_and_b32 s82, s82, 0xffffff                               // 00000000AFA4: 8652FF52 00FFFFFF
	s_cmp_lt_u32 s82, s66                                      // 00000000AFAC: BF0A4252
	s_cselect_b32 s20, s36, s60                                // 00000000AFB0: 85143C24
	v_readlane_b32 s82, v3, 23                                 // 00000000AFB4: D2890052 00012F03
	s_and_b32 s82, s82, 0xffffff                               // 00000000AFBC: 8652FF52 00FFFFFF
	s_cmp_lt_u32 s82, s66                                      // 00000000AFC4: BF0A4252
	s_cselect_b32 s21, s36, s60                                // 00000000AFC8: 85153C24
	s_mov_b64 exec, s[20:21]                                   // 00000000AFCC: BEFE0114
	global_atomic_add_f32 v6, v105, s[8:9]                     // 00000000AFD0: DD348000 00086906
	s_mov_b64 exec, s[36:37]                                   // 00000000AFD8: BEFE0124
	v_mov_b32_e32 v6, v76                                      // 00000000AFDC: 7E0C034C
	s_mov_b64 s[60:61], 0                                      // 00000000AFE0: BEBC0180
	v_readlane_b32 s82, v3, 24                                 // 00000000AFE4: D2890052 00013103
	s_and_b32 s82, s82, 0xffffff                               // 00000000AFEC: 8652FF52 00FFFFFF
	s_cmp_lt_u32 s82, s66                                      // 00000000AFF4: BF0A4252
	s_cselect_b32 s20, s36, s60                                // 00000000AFF8: 85143C24
	v_readlane_b32 s82, v3, 25                                 // 00000000AFFC: D2890052 00013303
	s_and_b32 s82, s82, 0xffffff                               // 00000000B004: 8652FF52 00FFFFFF
	s_cmp_lt_u32 s82, s66                                      // 00000000B00C: BF0A4252
	s_cselect_b32 s21, s36, s60                                // 00000000B010: 85153C24
	s_mov_b64 exec, s[20:21]                                   // 00000000B014: BEFE0114
	global_atomic_add_f32 v6, v108, s[8:9]                     // 00000000B018: DD348000 00086C06
	s_mov_b64 exec, s[36:37]                                   // 00000000B020: BEFE0124
	v_mov_b32_e32 v6, v77                                      // 00000000B024: 7E0C034D
	s_mov_b64 s[60:61], 0                                      // 00000000B028: BEBC0180
	v_readlane_b32 s82, v3, 26                                 // 00000000B02C: D2890052 00013503
	s_and_b32 s82, s82, 0xffffff                               // 00000000B034: 8652FF52 00FFFFFF
	s_cmp_lt_u32 s82, s66                                      // 00000000B03C: BF0A4252
	s_cselect_b32 s20, s36, s60                                // 00000000B040: 85143C24
	v_readlane_b32 s82, v3, 27                                 // 00000000B044: D2890052 00013703
	s_and_b32 s82, s82, 0xffffff                               // 00000000B04C: 8652FF52 00FFFFFF
	s_cmp_lt_u32 s82, s66                                      // 00000000B054: BF0A4252
	s_cselect_b32 s21, s36, s60                                // 00000000B058: 85153C24
	s_mov_b64 exec, s[20:21]                                   // 00000000B05C: BEFE0114
	global_atomic_add_f32 v6, v109, s[8:9]                     // 00000000B060: DD348000 00086D06
	s_mov_b64 exec, s[36:37]                                   // 00000000B068: BEFE0124
	v_mov_b32_e32 v6, v78                                      // 00000000B06C: 7E0C034E
	s_mov_b64 s[60:61], 0                                      // 00000000B070: BEBC0180
	v_readlane_b32 s82, v3, 28                                 // 00000000B074: D2890052 00013903
	s_and_b32 s82, s82, 0xffffff                               // 00000000B07C: 8652FF52 00FFFFFF
	s_cmp_lt_u32 s82, s66                                      // 00000000B084: BF0A4252
	s_cselect_b32 s20, s36, s60                                // 00000000B088: 85143C24
	v_readlane_b32 s82, v3, 29                                 // 00000000B08C: D2890052 00013B03
	s_and_b32 s82, s82, 0xffffff                               // 00000000B094: 8652FF52 00FFFFFF
	s_cmp_lt_u32 s82, s66                                      // 00000000B09C: BF0A4252
	s_cselect_b32 s21, s36, s60                                // 00000000B0A0: 85153C24
	s_mov_b64 exec, s[20:21]                                   // 00000000B0A4: BEFE0114
	global_atomic_add_f32 v6, v112, s[8:9]                     // 00000000B0A8: DD348000 00087006
	s_mov_b64 exec, s[36:37]                                   // 00000000B0B0: BEFE0124
	v_mov_b32_e32 v6, v79                                      // 00000000B0B4: 7E0C034F
	s_mov_b64 s[60:61], 0                                      // 00000000B0B8: BEBC0180
	v_readlane_b32 s82, v3, 30                                 // 00000000B0BC: D2890052 00013D03
	s_and_b32 s82, s82, 0xffffff                               // 00000000B0C4: 8652FF52 00FFFFFF
	s_cmp_lt_u32 s82, s66                                      // 00000000B0CC: BF0A4252
	s_cselect_b32 s20, s36, s60                                // 00000000B0D0: 85143C24
	v_readlane_b32 s82, v3, 31                                 // 00000000B0D4: D2890052 00013F03
	s_and_b32 s82, s82, 0xffffff                               // 00000000B0DC: 8652FF52 00FFFFFF
	s_cmp_lt_u32 s82, s66                                      // 00000000B0E4: BF0A4252
	s_cselect_b32 s21, s36, s60                                // 00000000B0E8: 85153C24
	s_mov_b64 exec, s[20:21]                                   // 00000000B0EC: BEFE0114
	global_atomic_add_f32 v6, v113, s[8:9]                     // 00000000B0F0: DD348000 00087106
	s_mov_b64 exec, s[36:37]                                   // 00000000B0F8: BEFE0124
	v_mov_b32_e32 v6, v80                                      // 00000000B0FC: 7E0C0350
	s_mov_b64 s[60:61], 0                                      // 00000000B100: BEBC0180
	v_readlane_b32 s82, v3, 32                                 // 00000000B104: D2890052 00014103
	s_and_b32 s82, s82, 0xffffff                               // 00000000B10C: 8652FF52 00FFFFFF
	s_cmp_lt_u32 s82, s66                                      // 00000000B114: BF0A4252
	s_cselect_b32 s20, s36, s60                                // 00000000B118: 85143C24
	v_readlane_b32 s82, v3, 33                                 // 00000000B11C: D2890052 00014303
	s_and_b32 s82, s82, 0xffffff                               // 00000000B124: 8652FF52 00FFFFFF
	s_cmp_lt_u32 s82, s66                                      // 00000000B12C: BF0A4252
	s_cselect_b32 s21, s36, s60                                // 00000000B130: 85153C24
	s_mov_b64 exec, s[20:21]                                   // 00000000B134: BEFE0114
	global_atomic_add_f32 v6, v116, s[8:9]                     // 00000000B138: DD348000 00087406
	s_mov_b64 exec, s[36:37]                                   // 00000000B140: BEFE0124
	v_mov_b32_e32 v6, v81                                      // 00000000B144: 7E0C0351
	s_mov_b64 s[60:61], 0                                      // 00000000B148: BEBC0180
	v_readlane_b32 s82, v3, 34                                 // 00000000B14C: D2890052 00014503
	s_and_b32 s82, s82, 0xffffff                               // 00000000B154: 8652FF52 00FFFFFF
	s_cmp_lt_u32 s82, s66                                      // 00000000B15C: BF0A4252
	s_cselect_b32 s20, s36, s60                                // 00000000B160: 85143C24
	v_readlane_b32 s82, v3, 35                                 // 00000000B164: D2890052 00014703
	s_and_b32 s82, s82, 0xffffff                               // 00000000B16C: 8652FF52 00FFFFFF
	s_cmp_lt_u32 s82, s66                                      // 00000000B174: BF0A4252
	s_cselect_b32 s21, s36, s60                                // 00000000B178: 85153C24
	s_mov_b64 exec, s[20:21]                                   // 00000000B17C: BEFE0114
	global_atomic_add_f32 v6, v117, s[8:9]                     // 00000000B180: DD348000 00087506
	s_mov_b64 exec, s[36:37]                                   // 00000000B188: BEFE0124
	ds_write_b64 v20, v[86:87]                                 // 00000000B18C: D89A0000 00005614
	ds_write_b64 v20, v[90:91] offset:2176                     // 00000000B194: D89A0880 00005A14
	ds_write_b64 v20, v[94:95] offset:4352                     // 00000000B19C: D89A1100 00005E14
	ds_write_b64 v20, v[98:99] offset:6528                     // 00000000B1A4: D89A1980 00006214
	ds_write_b64 v20, v[102:103] offset:8704                   // 00000000B1AC: D89A2200 00006614
	ds_write_b64 v20, v[106:107] offset:10880                  // 00000000B1B4: D89A2A80 00006A14
	ds_write_b64 v20, v[110:111] offset:13056                  // 00000000B1BC: D89A3300 00006E14
	ds_write_b64 v20, v[114:115] offset:15232                  // 00000000B1C4: D89A3B80 00007214
	ds_write_b64 v20, v[118:119] offset:17408                  // 00000000B1CC: D89A4400 00007614
	s_waitcnt lgkmcnt(0)                                       // 00000000B1D4: BF8CC07F
	s_barrier                                                  // 00000000B1D8: BF8A0000
	ds_read_b32 v86, v21                                       // 00000000B1DC: D86C0000 56000015
	ds_read_b32 v87, v21 offset:64                             // 00000000B1E4: D86C0040 57000015
	ds_read_b32 v90, v21 offset:2176                           // 00000000B1EC: D86C0880 5A000015
	ds_read_b32 v91, v21 offset:2240                           // 00000000B1F4: D86C08C0 5B000015
	ds_read_b32 v94, v21 offset:4352                           // 00000000B1FC: D86C1100 5E000015
	ds_read_b32 v95, v21 offset:4416                           // 00000000B204: D86C1140 5F000015
	ds_read_b32 v98, v21 offset:6528                           // 00000000B20C: D86C1980 62000015
	ds_read_b32 v99, v21 offset:6592                           // 00000000B214: D86C19C0 63000015
	ds_read_b32 v102, v21 offset:8704                          // 00000000B21C: D86C2200 66000015
	ds_read_b32 v103, v21 offset:8768                          // 00000000B224: D86C2240 67000015
	ds_read_b32 v106, v21 offset:10880                         // 00000000B22C: D86C2A80 6A000015
	ds_read_b32 v107, v21 offset:10944                         // 00000000B234: D86C2AC0 6B000015
	ds_read_b32 v110, v21 offset:13056                         // 00000000B23C: D86C3300 6E000015
	ds_read_b32 v111, v21 offset:13120                         // 00000000B244: D86C3340 6F000015
	ds_read_b32 v114, v21 offset:15232                         // 00000000B24C: D86C3B80 72000015
	ds_read_b32 v115, v21 offset:15296                         // 00000000B254: D86C3BC0 73000015
	ds_read_b32 v118, v21 offset:17408                         // 00000000B25C: D86C4400 76000015
	ds_read_b32 v119, v21 offset:17472                         // 00000000B264: D86C4440 77000015
	s_waitcnt lgkmcnt(0)                                       // 00000000B26C: BF8CC07F
	v_mov_b32_e32 v7, 0                                        // 00000000B270: 7E0E0280
	s_mov_b64 exec, s[36:37]                                   // 00000000B274: BEFE0124
	v_mov_b32_e32 v6, v64                                      // 00000000B278: 7E0C0340
	s_mov_b64 s[60:61], 0                                      // 00000000B27C: BEBC0180
	v_readlane_b32 s82, v3, 0                                  // 00000000B280: D2890052 00010103
	s_and_b32 s82, s82, 0xffffff                               // 00000000B288: 8652FF52 00FFFFFF
	s_cmp_lt_u32 s82, s66                                      // 00000000B290: BF0A4252
	s_cselect_b32 s20, s36, s60                                // 00000000B294: 85143C24
	v_readlane_b32 s82, v3, 1                                  // 00000000B298: D2890052 00010303
	s_and_b32 s82, s82, 0xffffff                               // 00000000B2A0: 8652FF52 00FFFFFF
	s_cmp_lt_u32 s82, s66                                      // 00000000B2A8: BF0A4252
	s_cselect_b32 s21, s36, s60                                // 00000000B2AC: 85153C24
	s_mov_b64 exec, s[20:21]                                   // 00000000B2B0: BEFE0114
	global_atomic_add_f32 v6, v86, s[8:9] offset:8             // 00000000B2B4: DD348008 00085606
	s_mov_b64 exec, s[36:37]                                   // 00000000B2BC: BEFE0124
	v_mov_b32_e32 v6, v65                                      // 00000000B2C0: 7E0C0341
	s_mov_b64 s[60:61], 0                                      // 00000000B2C4: BEBC0180
	v_readlane_b32 s82, v3, 2                                  // 00000000B2C8: D2890052 00010503
	s_and_b32 s82, s82, 0xffffff                               // 00000000B2D0: 8652FF52 00FFFFFF
	s_cmp_lt_u32 s82, s66                                      // 00000000B2D8: BF0A4252
	s_cselect_b32 s20, s36, s60                                // 00000000B2DC: 85143C24
	v_readlane_b32 s82, v3, 3                                  // 00000000B2E0: D2890052 00010703
	s_and_b32 s82, s82, 0xffffff                               // 00000000B2E8: 8652FF52 00FFFFFF
	s_cmp_lt_u32 s82, s66                                      // 00000000B2F0: BF0A4252
	s_cselect_b32 s21, s36, s60                                // 00000000B2F4: 85153C24
	s_mov_b64 exec, s[20:21]                                   // 00000000B2F8: BEFE0114
	global_atomic_add_f32 v6, v87, s[8:9] offset:8             // 00000000B2FC: DD348008 00085706
	s_mov_b64 exec, s[36:37]                                   // 00000000B304: BEFE0124
	v_mov_b32_e32 v6, v66                                      // 00000000B308: 7E0C0342
	s_mov_b64 s[60:61], 0                                      // 00000000B30C: BEBC0180
	v_readlane_b32 s82, v3, 4                                  // 00000000B310: D2890052 00010903
	s_and_b32 s82, s82, 0xffffff                               // 00000000B318: 8652FF52 00FFFFFF
	s_cmp_lt_u32 s82, s66                                      // 00000000B320: BF0A4252
	s_cselect_b32 s20, s36, s60                                // 00000000B324: 85143C24
	v_readlane_b32 s82, v3, 5                                  // 00000000B328: D2890052 00010B03
	s_and_b32 s82, s82, 0xffffff                               // 00000000B330: 8652FF52 00FFFFFF
	s_cmp_lt_u32 s82, s66                                      // 00000000B338: BF0A4252
	s_cselect_b32 s21, s36, s60                                // 00000000B33C: 85153C24
	s_mov_b64 exec, s[20:21]                                   // 00000000B340: BEFE0114
	global_atomic_add_f32 v6, v90, s[8:9] offset:8             // 00000000B344: DD348008 00085A06
	s_mov_b64 exec, s[36:37]                                   // 00000000B34C: BEFE0124
	v_mov_b32_e32 v6, v67                                      // 00000000B350: 7E0C0343
	s_mov_b64 s[60:61], 0                                      // 00000000B354: BEBC0180
	v_readlane_b32 s82, v3, 6                                  // 00000000B358: D2890052 00010D03
	s_and_b32 s82, s82, 0xffffff                               // 00000000B360: 8652FF52 00FFFFFF
	s_cmp_lt_u32 s82, s66                                      // 00000000B368: BF0A4252
	s_cselect_b32 s20, s36, s60                                // 00000000B36C: 85143C24
	v_readlane_b32 s82, v3, 7                                  // 00000000B370: D2890052 00010F03
	s_and_b32 s82, s82, 0xffffff                               // 00000000B378: 8652FF52 00FFFFFF
	s_cmp_lt_u32 s82, s66                                      // 00000000B380: BF0A4252
	s_cselect_b32 s21, s36, s60                                // 00000000B384: 85153C24
	s_mov_b64 exec, s[20:21]                                   // 00000000B388: BEFE0114
	global_atomic_add_f32 v6, v91, s[8:9] offset:8             // 00000000B38C: DD348008 00085B06
	s_mov_b64 exec, s[36:37]                                   // 00000000B394: BEFE0124
	v_mov_b32_e32 v6, v68                                      // 00000000B398: 7E0C0344
	s_mov_b64 s[60:61], 0                                      // 00000000B39C: BEBC0180
	v_readlane_b32 s82, v3, 8                                  // 00000000B3A0: D2890052 00011103
	s_and_b32 s82, s82, 0xffffff                               // 00000000B3A8: 8652FF52 00FFFFFF
	s_cmp_lt_u32 s82, s66                                      // 00000000B3B0: BF0A4252
	s_cselect_b32 s20, s36, s60                                // 00000000B3B4: 85143C24
	v_readlane_b32 s82, v3, 9                                  // 00000000B3B8: D2890052 00011303
	s_and_b32 s82, s82, 0xffffff                               // 00000000B3C0: 8652FF52 00FFFFFF
	s_cmp_lt_u32 s82, s66                                      // 00000000B3C8: BF0A4252
	s_cselect_b32 s21, s36, s60                                // 00000000B3CC: 85153C24
	s_mov_b64 exec, s[20:21]                                   // 00000000B3D0: BEFE0114
	global_atomic_add_f32 v6, v94, s[8:9] offset:8             // 00000000B3D4: DD348008 00085E06
	s_mov_b64 exec, s[36:37]                                   // 00000000B3DC: BEFE0124
	v_mov_b32_e32 v6, v69                                      // 00000000B3E0: 7E0C0345
	s_mov_b64 s[60:61], 0                                      // 00000000B3E4: BEBC0180
	v_readlane_b32 s82, v3, 10                                 // 00000000B3E8: D2890052 00011503
	s_and_b32 s82, s82, 0xffffff                               // 00000000B3F0: 8652FF52 00FFFFFF
	s_cmp_lt_u32 s82, s66                                      // 00000000B3F8: BF0A4252
	s_cselect_b32 s20, s36, s60                                // 00000000B3FC: 85143C24
	v_readlane_b32 s82, v3, 11                                 // 00000000B400: D2890052 00011703
	s_and_b32 s82, s82, 0xffffff                               // 00000000B408: 8652FF52 00FFFFFF
	s_cmp_lt_u32 s82, s66                                      // 00000000B410: BF0A4252
	s_cselect_b32 s21, s36, s60                                // 00000000B414: 85153C24
	s_mov_b64 exec, s[20:21]                                   // 00000000B418: BEFE0114
	global_atomic_add_f32 v6, v95, s[8:9] offset:8             // 00000000B41C: DD348008 00085F06
	s_mov_b64 exec, s[36:37]                                   // 00000000B424: BEFE0124
	v_mov_b32_e32 v6, v70                                      // 00000000B428: 7E0C0346
	s_mov_b64 s[60:61], 0                                      // 00000000B42C: BEBC0180
	v_readlane_b32 s82, v3, 12                                 // 00000000B430: D2890052 00011903
	s_and_b32 s82, s82, 0xffffff                               // 00000000B438: 8652FF52 00FFFFFF
	s_cmp_lt_u32 s82, s66                                      // 00000000B440: BF0A4252
	s_cselect_b32 s20, s36, s60                                // 00000000B444: 85143C24
	v_readlane_b32 s82, v3, 13                                 // 00000000B448: D2890052 00011B03
	s_and_b32 s82, s82, 0xffffff                               // 00000000B450: 8652FF52 00FFFFFF
	s_cmp_lt_u32 s82, s66                                      // 00000000B458: BF0A4252
	s_cselect_b32 s21, s36, s60                                // 00000000B45C: 85153C24
	s_mov_b64 exec, s[20:21]                                   // 00000000B460: BEFE0114
	global_atomic_add_f32 v6, v98, s[8:9] offset:8             // 00000000B464: DD348008 00086206
	s_mov_b64 exec, s[36:37]                                   // 00000000B46C: BEFE0124
	v_mov_b32_e32 v6, v71                                      // 00000000B470: 7E0C0347
	s_mov_b64 s[60:61], 0                                      // 00000000B474: BEBC0180
	v_readlane_b32 s82, v3, 14                                 // 00000000B478: D2890052 00011D03
	s_and_b32 s82, s82, 0xffffff                               // 00000000B480: 8652FF52 00FFFFFF
	s_cmp_lt_u32 s82, s66                                      // 00000000B488: BF0A4252
	s_cselect_b32 s20, s36, s60                                // 00000000B48C: 85143C24
	v_readlane_b32 s82, v3, 15                                 // 00000000B490: D2890052 00011F03
	s_and_b32 s82, s82, 0xffffff                               // 00000000B498: 8652FF52 00FFFFFF
	s_cmp_lt_u32 s82, s66                                      // 00000000B4A0: BF0A4252
	s_cselect_b32 s21, s36, s60                                // 00000000B4A4: 85153C24
	s_mov_b64 exec, s[20:21]                                   // 00000000B4A8: BEFE0114
	global_atomic_add_f32 v6, v99, s[8:9] offset:8             // 00000000B4AC: DD348008 00086306
	s_mov_b64 exec, s[36:37]                                   // 00000000B4B4: BEFE0124
	v_mov_b32_e32 v6, v72                                      // 00000000B4B8: 7E0C0348
	s_mov_b64 s[60:61], 0                                      // 00000000B4BC: BEBC0180
	v_readlane_b32 s82, v3, 16                                 // 00000000B4C0: D2890052 00012103
	s_and_b32 s82, s82, 0xffffff                               // 00000000B4C8: 8652FF52 00FFFFFF
	s_cmp_lt_u32 s82, s66                                      // 00000000B4D0: BF0A4252
	s_cselect_b32 s20, s36, s60                                // 00000000B4D4: 85143C24
	v_readlane_b32 s82, v3, 17                                 // 00000000B4D8: D2890052 00012303
	s_and_b32 s82, s82, 0xffffff                               // 00000000B4E0: 8652FF52 00FFFFFF
	s_cmp_lt_u32 s82, s66                                      // 00000000B4E8: BF0A4252
	s_cselect_b32 s21, s36, s60                                // 00000000B4EC: 85153C24
	s_mov_b64 exec, s[20:21]                                   // 00000000B4F0: BEFE0114
	global_atomic_add_f32 v6, v102, s[8:9] offset:8            // 00000000B4F4: DD348008 00086606
	s_mov_b64 exec, s[36:37]                                   // 00000000B4FC: BEFE0124
	v_mov_b32_e32 v6, v73                                      // 00000000B500: 7E0C0349
	s_mov_b64 s[60:61], 0                                      // 00000000B504: BEBC0180
	v_readlane_b32 s82, v3, 18                                 // 00000000B508: D2890052 00012503
	s_and_b32 s82, s82, 0xffffff                               // 00000000B510: 8652FF52 00FFFFFF
	s_cmp_lt_u32 s82, s66                                      // 00000000B518: BF0A4252
	s_cselect_b32 s20, s36, s60                                // 00000000B51C: 85143C24
	v_readlane_b32 s82, v3, 19                                 // 00000000B520: D2890052 00012703
	s_and_b32 s82, s82, 0xffffff                               // 00000000B528: 8652FF52 00FFFFFF
	s_cmp_lt_u32 s82, s66                                      // 00000000B530: BF0A4252
	s_cselect_b32 s21, s36, s60                                // 00000000B534: 85153C24
	s_mov_b64 exec, s[20:21]                                   // 00000000B538: BEFE0114
	global_atomic_add_f32 v6, v103, s[8:9] offset:8            // 00000000B53C: DD348008 00086706
	s_mov_b64 exec, s[36:37]                                   // 00000000B544: BEFE0124
	v_mov_b32_e32 v6, v74                                      // 00000000B548: 7E0C034A
	s_mov_b64 s[60:61], 0                                      // 00000000B54C: BEBC0180
	v_readlane_b32 s82, v3, 20                                 // 00000000B550: D2890052 00012903
	s_and_b32 s82, s82, 0xffffff                               // 00000000B558: 8652FF52 00FFFFFF
	s_cmp_lt_u32 s82, s66                                      // 00000000B560: BF0A4252
	s_cselect_b32 s20, s36, s60                                // 00000000B564: 85143C24
	v_readlane_b32 s82, v3, 21                                 // 00000000B568: D2890052 00012B03
	s_and_b32 s82, s82, 0xffffff                               // 00000000B570: 8652FF52 00FFFFFF
	s_cmp_lt_u32 s82, s66                                      // 00000000B578: BF0A4252
	s_cselect_b32 s21, s36, s60                                // 00000000B57C: 85153C24
	s_mov_b64 exec, s[20:21]                                   // 00000000B580: BEFE0114
	global_atomic_add_f32 v6, v106, s[8:9] offset:8            // 00000000B584: DD348008 00086A06
	s_mov_b64 exec, s[36:37]                                   // 00000000B58C: BEFE0124
	v_mov_b32_e32 v6, v75                                      // 00000000B590: 7E0C034B
	s_mov_b64 s[60:61], 0                                      // 00000000B594: BEBC0180
	v_readlane_b32 s82, v3, 22                                 // 00000000B598: D2890052 00012D03
	s_and_b32 s82, s82, 0xffffff                               // 00000000B5A0: 8652FF52 00FFFFFF
	s_cmp_lt_u32 s82, s66                                      // 00000000B5A8: BF0A4252
	s_cselect_b32 s20, s36, s60                                // 00000000B5AC: 85143C24
	v_readlane_b32 s82, v3, 23                                 // 00000000B5B0: D2890052 00012F03
	s_and_b32 s82, s82, 0xffffff                               // 00000000B5B8: 8652FF52 00FFFFFF
	s_cmp_lt_u32 s82, s66                                      // 00000000B5C0: BF0A4252
	s_cselect_b32 s21, s36, s60                                // 00000000B5C4: 85153C24
	s_mov_b64 exec, s[20:21]                                   // 00000000B5C8: BEFE0114
	global_atomic_add_f32 v6, v107, s[8:9] offset:8            // 00000000B5CC: DD348008 00086B06
	s_mov_b64 exec, s[36:37]                                   // 00000000B5D4: BEFE0124
	v_mov_b32_e32 v6, v76                                      // 00000000B5D8: 7E0C034C
	s_mov_b64 s[60:61], 0                                      // 00000000B5DC: BEBC0180
	v_readlane_b32 s82, v3, 24                                 // 00000000B5E0: D2890052 00013103
	s_and_b32 s82, s82, 0xffffff                               // 00000000B5E8: 8652FF52 00FFFFFF
	s_cmp_lt_u32 s82, s66                                      // 00000000B5F0: BF0A4252
	s_cselect_b32 s20, s36, s60                                // 00000000B5F4: 85143C24
	v_readlane_b32 s82, v3, 25                                 // 00000000B5F8: D2890052 00013303
	s_and_b32 s82, s82, 0xffffff                               // 00000000B600: 8652FF52 00FFFFFF
	s_cmp_lt_u32 s82, s66                                      // 00000000B608: BF0A4252
	s_cselect_b32 s21, s36, s60                                // 00000000B60C: 85153C24
	s_mov_b64 exec, s[20:21]                                   // 00000000B610: BEFE0114
	global_atomic_add_f32 v6, v110, s[8:9] offset:8            // 00000000B614: DD348008 00086E06
	s_mov_b64 exec, s[36:37]                                   // 00000000B61C: BEFE0124
	v_mov_b32_e32 v6, v77                                      // 00000000B620: 7E0C034D
	s_mov_b64 s[60:61], 0                                      // 00000000B624: BEBC0180
	v_readlane_b32 s82, v3, 26                                 // 00000000B628: D2890052 00013503
	s_and_b32 s82, s82, 0xffffff                               // 00000000B630: 8652FF52 00FFFFFF
	s_cmp_lt_u32 s82, s66                                      // 00000000B638: BF0A4252
	s_cselect_b32 s20, s36, s60                                // 00000000B63C: 85143C24
	v_readlane_b32 s82, v3, 27                                 // 00000000B640: D2890052 00013703
	s_and_b32 s82, s82, 0xffffff                               // 00000000B648: 8652FF52 00FFFFFF
	s_cmp_lt_u32 s82, s66                                      // 00000000B650: BF0A4252
	s_cselect_b32 s21, s36, s60                                // 00000000B654: 85153C24
	s_mov_b64 exec, s[20:21]                                   // 00000000B658: BEFE0114
	global_atomic_add_f32 v6, v111, s[8:9] offset:8            // 00000000B65C: DD348008 00086F06
	s_mov_b64 exec, s[36:37]                                   // 00000000B664: BEFE0124
	v_mov_b32_e32 v6, v78                                      // 00000000B668: 7E0C034E
	s_mov_b64 s[60:61], 0                                      // 00000000B66C: BEBC0180
	v_readlane_b32 s82, v3, 28                                 // 00000000B670: D2890052 00013903
	s_and_b32 s82, s82, 0xffffff                               // 00000000B678: 8652FF52 00FFFFFF
	s_cmp_lt_u32 s82, s66                                      // 00000000B680: BF0A4252
	s_cselect_b32 s20, s36, s60                                // 00000000B684: 85143C24
	v_readlane_b32 s82, v3, 29                                 // 00000000B688: D2890052 00013B03
	s_and_b32 s82, s82, 0xffffff                               // 00000000B690: 8652FF52 00FFFFFF
	s_cmp_lt_u32 s82, s66                                      // 00000000B698: BF0A4252
	s_cselect_b32 s21, s36, s60                                // 00000000B69C: 85153C24
	s_mov_b64 exec, s[20:21]                                   // 00000000B6A0: BEFE0114
	global_atomic_add_f32 v6, v114, s[8:9] offset:8            // 00000000B6A4: DD348008 00087206
	s_mov_b64 exec, s[36:37]                                   // 00000000B6AC: BEFE0124
	v_mov_b32_e32 v6, v79                                      // 00000000B6B0: 7E0C034F
	s_mov_b64 s[60:61], 0                                      // 00000000B6B4: BEBC0180
	v_readlane_b32 s82, v3, 30                                 // 00000000B6B8: D2890052 00013D03
	s_and_b32 s82, s82, 0xffffff                               // 00000000B6C0: 8652FF52 00FFFFFF
	s_cmp_lt_u32 s82, s66                                      // 00000000B6C8: BF0A4252
	s_cselect_b32 s20, s36, s60                                // 00000000B6CC: 85143C24
	v_readlane_b32 s82, v3, 31                                 // 00000000B6D0: D2890052 00013F03
	s_and_b32 s82, s82, 0xffffff                               // 00000000B6D8: 8652FF52 00FFFFFF
	s_cmp_lt_u32 s82, s66                                      // 00000000B6E0: BF0A4252
	s_cselect_b32 s21, s36, s60                                // 00000000B6E4: 85153C24
	s_mov_b64 exec, s[20:21]                                   // 00000000B6E8: BEFE0114
	global_atomic_add_f32 v6, v115, s[8:9] offset:8            // 00000000B6EC: DD348008 00087306
	s_mov_b64 exec, s[36:37]                                   // 00000000B6F4: BEFE0124
	v_mov_b32_e32 v6, v80                                      // 00000000B6F8: 7E0C0350
	s_mov_b64 s[60:61], 0                                      // 00000000B6FC: BEBC0180
	v_readlane_b32 s82, v3, 32                                 // 00000000B700: D2890052 00014103
	s_and_b32 s82, s82, 0xffffff                               // 00000000B708: 8652FF52 00FFFFFF
	s_cmp_lt_u32 s82, s66                                      // 00000000B710: BF0A4252
	s_cselect_b32 s20, s36, s60                                // 00000000B714: 85143C24
	v_readlane_b32 s82, v3, 33                                 // 00000000B718: D2890052 00014303
	s_and_b32 s82, s82, 0xffffff                               // 00000000B720: 8652FF52 00FFFFFF
	s_cmp_lt_u32 s82, s66                                      // 00000000B728: BF0A4252
	s_cselect_b32 s21, s36, s60                                // 00000000B72C: 85153C24
	s_mov_b64 exec, s[20:21]                                   // 00000000B730: BEFE0114
	global_atomic_add_f32 v6, v118, s[8:9] offset:8            // 00000000B734: DD348008 00087606
	s_mov_b64 exec, s[36:37]                                   // 00000000B73C: BEFE0124
	v_mov_b32_e32 v6, v81                                      // 00000000B740: 7E0C0351
	s_mov_b64 s[60:61], 0                                      // 00000000B744: BEBC0180
	v_readlane_b32 s82, v3, 34                                 // 00000000B748: D2890052 00014503
	s_and_b32 s82, s82, 0xffffff                               // 00000000B750: 8652FF52 00FFFFFF
	s_cmp_lt_u32 s82, s66                                      // 00000000B758: BF0A4252
	s_cselect_b32 s20, s36, s60                                // 00000000B75C: 85143C24
	v_readlane_b32 s82, v3, 35                                 // 00000000B760: D2890052 00014703
	s_and_b32 s82, s82, 0xffffff                               // 00000000B768: 8652FF52 00FFFFFF
	s_cmp_lt_u32 s82, s66                                      // 00000000B770: BF0A4252
	s_cselect_b32 s21, s36, s60                                // 00000000B774: 85153C24
	s_mov_b64 exec, s[20:21]                                   // 00000000B778: BEFE0114
	global_atomic_add_f32 v6, v119, s[8:9] offset:8            // 00000000B77C: DD348008 00087706
	s_mov_b64 exec, s[36:37]                                   // 00000000B784: BEFE0124
	ds_write_b64 v20, v[120:121]                               // 00000000B788: D89A0000 00007814
	ds_write_b64 v20, v[124:125] offset:2176                   // 00000000B790: D89A0880 00007C14
	ds_write_b64 v20, v[128:129] offset:4352                   // 00000000B798: D89A1100 00008014
	ds_write_b64 v20, v[132:133] offset:6528                   // 00000000B7A0: D89A1980 00008414
	ds_write_b64 v20, v[136:137] offset:8704                   // 00000000B7A8: D89A2200 00008814
	ds_write_b64 v20, v[140:141] offset:10880                  // 00000000B7B0: D89A2A80 00008C14
	ds_write_b64 v20, v[144:145] offset:13056                  // 00000000B7B8: D89A3300 00009014
	ds_write_b64 v20, v[148:149] offset:15232                  // 00000000B7C0: D89A3B80 00009414
	ds_write_b64 v20, v[152:153] offset:17408                  // 00000000B7C8: D89A4400 00009814
	s_waitcnt lgkmcnt(0)                                       // 00000000B7D0: BF8CC07F
	s_barrier                                                  // 00000000B7D4: BF8A0000
	ds_read_b32 v120, v21                                      // 00000000B7D8: D86C0000 78000015
	ds_read_b32 v121, v21 offset:64                            // 00000000B7E0: D86C0040 79000015
	ds_read_b32 v124, v21 offset:2176                          // 00000000B7E8: D86C0880 7C000015
	ds_read_b32 v125, v21 offset:2240                          // 00000000B7F0: D86C08C0 7D000015
	ds_read_b32 v128, v21 offset:4352                          // 00000000B7F8: D86C1100 80000015
	ds_read_b32 v129, v21 offset:4416                          // 00000000B800: D86C1140 81000015
	ds_read_b32 v132, v21 offset:6528                          // 00000000B808: D86C1980 84000015
	ds_read_b32 v133, v21 offset:6592                          // 00000000B810: D86C19C0 85000015
	ds_read_b32 v136, v21 offset:8704                          // 00000000B818: D86C2200 88000015
	ds_read_b32 v137, v21 offset:8768                          // 00000000B820: D86C2240 89000015
	ds_read_b32 v140, v21 offset:10880                         // 00000000B828: D86C2A80 8C000015
	ds_read_b32 v141, v21 offset:10944                         // 00000000B830: D86C2AC0 8D000015
	ds_read_b32 v144, v21 offset:13056                         // 00000000B838: D86C3300 90000015
	ds_read_b32 v145, v21 offset:13120                         // 00000000B840: D86C3340 91000015
	ds_read_b32 v148, v21 offset:15232                         // 00000000B848: D86C3B80 94000015
	ds_read_b32 v149, v21 offset:15296                         // 00000000B850: D86C3BC0 95000015
	ds_read_b32 v152, v21 offset:17408                         // 00000000B858: D86C4400 98000015
	ds_read_b32 v153, v21 offset:17472                         // 00000000B860: D86C4440 99000015
	s_mul_i32 s60, s65, 4                                      // 00000000B868: 923C8441
	s_add_u32 s8, s60, s8                                      // 00000000B86C: 8008083C
	s_addc_u32 s9, 0, s9                                       // 00000000B870: 82090980
	s_waitcnt lgkmcnt(0)                                       // 00000000B874: BF8CC07F
	v_mov_b32_e32 v7, 0                                        // 00000000B878: 7E0E0280
	s_mov_b64 exec, s[36:37]                                   // 00000000B87C: BEFE0124
	v_mov_b32_e32 v6, v64                                      // 00000000B880: 7E0C0340
	s_mov_b64 s[60:61], 0                                      // 00000000B884: BEBC0180
	v_readlane_b32 s82, v3, 0                                  // 00000000B888: D2890052 00010103
	s_and_b32 s82, s82, 0xffffff                               // 00000000B890: 8652FF52 00FFFFFF
	s_cmp_lt_u32 s82, s66                                      // 00000000B898: BF0A4252
	s_cselect_b32 s20, s36, s60                                // 00000000B89C: 85143C24
	v_readlane_b32 s82, v3, 1                                  // 00000000B8A0: D2890052 00010303
	s_and_b32 s82, s82, 0xffffff                               // 00000000B8A8: 8652FF52 00FFFFFF
	s_cmp_lt_u32 s82, s66                                      // 00000000B8B0: BF0A4252
	s_cselect_b32 s21, s36, s60                                // 00000000B8B4: 85153C24
	s_mov_b64 exec, s[20:21]                                   // 00000000B8B8: BEFE0114
	global_atomic_add_f32 v6, v120, s[8:9]                     // 00000000B8BC: DD348000 00087806
	s_mov_b64 exec, s[36:37]                                   // 00000000B8C4: BEFE0124
	v_mov_b32_e32 v6, v65                                      // 00000000B8C8: 7E0C0341
	s_mov_b64 s[60:61], 0                                      // 00000000B8CC: BEBC0180
	v_readlane_b32 s82, v3, 2                                  // 00000000B8D0: D2890052 00010503
	s_and_b32 s82, s82, 0xffffff                               // 00000000B8D8: 8652FF52 00FFFFFF
	s_cmp_lt_u32 s82, s66                                      // 00000000B8E0: BF0A4252
	s_cselect_b32 s20, s36, s60                                // 00000000B8E4: 85143C24
	v_readlane_b32 s82, v3, 3                                  // 00000000B8E8: D2890052 00010703
	s_and_b32 s82, s82, 0xffffff                               // 00000000B8F0: 8652FF52 00FFFFFF
	s_cmp_lt_u32 s82, s66                                      // 00000000B8F8: BF0A4252
	s_cselect_b32 s21, s36, s60                                // 00000000B8FC: 85153C24
	s_mov_b64 exec, s[20:21]                                   // 00000000B900: BEFE0114
	global_atomic_add_f32 v6, v121, s[8:9]                     // 00000000B904: DD348000 00087906
	s_mov_b64 exec, s[36:37]                                   // 00000000B90C: BEFE0124
	v_mov_b32_e32 v6, v66                                      // 00000000B910: 7E0C0342
	s_mov_b64 s[60:61], 0                                      // 00000000B914: BEBC0180
	v_readlane_b32 s82, v3, 4                                  // 00000000B918: D2890052 00010903
	s_and_b32 s82, s82, 0xffffff                               // 00000000B920: 8652FF52 00FFFFFF
	s_cmp_lt_u32 s82, s66                                      // 00000000B928: BF0A4252
	s_cselect_b32 s20, s36, s60                                // 00000000B92C: 85143C24
	v_readlane_b32 s82, v3, 5                                  // 00000000B930: D2890052 00010B03
	s_and_b32 s82, s82, 0xffffff                               // 00000000B938: 8652FF52 00FFFFFF
	s_cmp_lt_u32 s82, s66                                      // 00000000B940: BF0A4252
	s_cselect_b32 s21, s36, s60                                // 00000000B944: 85153C24
	s_mov_b64 exec, s[20:21]                                   // 00000000B948: BEFE0114
	global_atomic_add_f32 v6, v124, s[8:9]                     // 00000000B94C: DD348000 00087C06
	s_mov_b64 exec, s[36:37]                                   // 00000000B954: BEFE0124
	v_mov_b32_e32 v6, v67                                      // 00000000B958: 7E0C0343
	s_mov_b64 s[60:61], 0                                      // 00000000B95C: BEBC0180
	v_readlane_b32 s82, v3, 6                                  // 00000000B960: D2890052 00010D03
	s_and_b32 s82, s82, 0xffffff                               // 00000000B968: 8652FF52 00FFFFFF
	s_cmp_lt_u32 s82, s66                                      // 00000000B970: BF0A4252
	s_cselect_b32 s20, s36, s60                                // 00000000B974: 85143C24
	v_readlane_b32 s82, v3, 7                                  // 00000000B978: D2890052 00010F03
	s_and_b32 s82, s82, 0xffffff                               // 00000000B980: 8652FF52 00FFFFFF
	s_cmp_lt_u32 s82, s66                                      // 00000000B988: BF0A4252
	s_cselect_b32 s21, s36, s60                                // 00000000B98C: 85153C24
	s_mov_b64 exec, s[20:21]                                   // 00000000B990: BEFE0114
	global_atomic_add_f32 v6, v125, s[8:9]                     // 00000000B994: DD348000 00087D06
	s_mov_b64 exec, s[36:37]                                   // 00000000B99C: BEFE0124
	v_mov_b32_e32 v6, v68                                      // 00000000B9A0: 7E0C0344
	s_mov_b64 s[60:61], 0                                      // 00000000B9A4: BEBC0180
	v_readlane_b32 s82, v3, 8                                  // 00000000B9A8: D2890052 00011103
	s_and_b32 s82, s82, 0xffffff                               // 00000000B9B0: 8652FF52 00FFFFFF
	s_cmp_lt_u32 s82, s66                                      // 00000000B9B8: BF0A4252
	s_cselect_b32 s20, s36, s60                                // 00000000B9BC: 85143C24
	v_readlane_b32 s82, v3, 9                                  // 00000000B9C0: D2890052 00011303
	s_and_b32 s82, s82, 0xffffff                               // 00000000B9C8: 8652FF52 00FFFFFF
	s_cmp_lt_u32 s82, s66                                      // 00000000B9D0: BF0A4252
	s_cselect_b32 s21, s36, s60                                // 00000000B9D4: 85153C24
	s_mov_b64 exec, s[20:21]                                   // 00000000B9D8: BEFE0114
	global_atomic_add_f32 v6, v128, s[8:9]                     // 00000000B9DC: DD348000 00088006
	s_mov_b64 exec, s[36:37]                                   // 00000000B9E4: BEFE0124
	v_mov_b32_e32 v6, v69                                      // 00000000B9E8: 7E0C0345
	s_mov_b64 s[60:61], 0                                      // 00000000B9EC: BEBC0180
	v_readlane_b32 s82, v3, 10                                 // 00000000B9F0: D2890052 00011503
	s_and_b32 s82, s82, 0xffffff                               // 00000000B9F8: 8652FF52 00FFFFFF
	s_cmp_lt_u32 s82, s66                                      // 00000000BA00: BF0A4252
	s_cselect_b32 s20, s36, s60                                // 00000000BA04: 85143C24
	v_readlane_b32 s82, v3, 11                                 // 00000000BA08: D2890052 00011703
	s_and_b32 s82, s82, 0xffffff                               // 00000000BA10: 8652FF52 00FFFFFF
	s_cmp_lt_u32 s82, s66                                      // 00000000BA18: BF0A4252
	s_cselect_b32 s21, s36, s60                                // 00000000BA1C: 85153C24
	s_mov_b64 exec, s[20:21]                                   // 00000000BA20: BEFE0114
	global_atomic_add_f32 v6, v129, s[8:9]                     // 00000000BA24: DD348000 00088106
	s_mov_b64 exec, s[36:37]                                   // 00000000BA2C: BEFE0124
	v_mov_b32_e32 v6, v70                                      // 00000000BA30: 7E0C0346
	s_mov_b64 s[60:61], 0                                      // 00000000BA34: BEBC0180
	v_readlane_b32 s82, v3, 12                                 // 00000000BA38: D2890052 00011903
	s_and_b32 s82, s82, 0xffffff                               // 00000000BA40: 8652FF52 00FFFFFF
	s_cmp_lt_u32 s82, s66                                      // 00000000BA48: BF0A4252
	s_cselect_b32 s20, s36, s60                                // 00000000BA4C: 85143C24
	v_readlane_b32 s82, v3, 13                                 // 00000000BA50: D2890052 00011B03
	s_and_b32 s82, s82, 0xffffff                               // 00000000BA58: 8652FF52 00FFFFFF
	s_cmp_lt_u32 s82, s66                                      // 00000000BA60: BF0A4252
	s_cselect_b32 s21, s36, s60                                // 00000000BA64: 85153C24
	s_mov_b64 exec, s[20:21]                                   // 00000000BA68: BEFE0114
	global_atomic_add_f32 v6, v132, s[8:9]                     // 00000000BA6C: DD348000 00088406
	s_mov_b64 exec, s[36:37]                                   // 00000000BA74: BEFE0124
	v_mov_b32_e32 v6, v71                                      // 00000000BA78: 7E0C0347
	s_mov_b64 s[60:61], 0                                      // 00000000BA7C: BEBC0180
	v_readlane_b32 s82, v3, 14                                 // 00000000BA80: D2890052 00011D03
	s_and_b32 s82, s82, 0xffffff                               // 00000000BA88: 8652FF52 00FFFFFF
	s_cmp_lt_u32 s82, s66                                      // 00000000BA90: BF0A4252
	s_cselect_b32 s20, s36, s60                                // 00000000BA94: 85143C24
	v_readlane_b32 s82, v3, 15                                 // 00000000BA98: D2890052 00011F03
	s_and_b32 s82, s82, 0xffffff                               // 00000000BAA0: 8652FF52 00FFFFFF
	s_cmp_lt_u32 s82, s66                                      // 00000000BAA8: BF0A4252
	s_cselect_b32 s21, s36, s60                                // 00000000BAAC: 85153C24
	s_mov_b64 exec, s[20:21]                                   // 00000000BAB0: BEFE0114
	global_atomic_add_f32 v6, v133, s[8:9]                     // 00000000BAB4: DD348000 00088506
	s_mov_b64 exec, s[36:37]                                   // 00000000BABC: BEFE0124
	v_mov_b32_e32 v6, v72                                      // 00000000BAC0: 7E0C0348
	s_mov_b64 s[60:61], 0                                      // 00000000BAC4: BEBC0180
	v_readlane_b32 s82, v3, 16                                 // 00000000BAC8: D2890052 00012103
	s_and_b32 s82, s82, 0xffffff                               // 00000000BAD0: 8652FF52 00FFFFFF
	s_cmp_lt_u32 s82, s66                                      // 00000000BAD8: BF0A4252
	s_cselect_b32 s20, s36, s60                                // 00000000BADC: 85143C24
	v_readlane_b32 s82, v3, 17                                 // 00000000BAE0: D2890052 00012303
	s_and_b32 s82, s82, 0xffffff                               // 00000000BAE8: 8652FF52 00FFFFFF
	s_cmp_lt_u32 s82, s66                                      // 00000000BAF0: BF0A4252
	s_cselect_b32 s21, s36, s60                                // 00000000BAF4: 85153C24
	s_mov_b64 exec, s[20:21]                                   // 00000000BAF8: BEFE0114
	global_atomic_add_f32 v6, v136, s[8:9]                     // 00000000BAFC: DD348000 00088806
	s_mov_b64 exec, s[36:37]                                   // 00000000BB04: BEFE0124
	v_mov_b32_e32 v6, v73                                      // 00000000BB08: 7E0C0349
	s_mov_b64 s[60:61], 0                                      // 00000000BB0C: BEBC0180
	v_readlane_b32 s82, v3, 18                                 // 00000000BB10: D2890052 00012503
	s_and_b32 s82, s82, 0xffffff                               // 00000000BB18: 8652FF52 00FFFFFF
	s_cmp_lt_u32 s82, s66                                      // 00000000BB20: BF0A4252
	s_cselect_b32 s20, s36, s60                                // 00000000BB24: 85143C24
	v_readlane_b32 s82, v3, 19                                 // 00000000BB28: D2890052 00012703
	s_and_b32 s82, s82, 0xffffff                               // 00000000BB30: 8652FF52 00FFFFFF
	s_cmp_lt_u32 s82, s66                                      // 00000000BB38: BF0A4252
	s_cselect_b32 s21, s36, s60                                // 00000000BB3C: 85153C24
	s_mov_b64 exec, s[20:21]                                   // 00000000BB40: BEFE0114
	global_atomic_add_f32 v6, v137, s[8:9]                     // 00000000BB44: DD348000 00088906
	s_mov_b64 exec, s[36:37]                                   // 00000000BB4C: BEFE0124
	v_mov_b32_e32 v6, v74                                      // 00000000BB50: 7E0C034A
	s_mov_b64 s[60:61], 0                                      // 00000000BB54: BEBC0180
	v_readlane_b32 s82, v3, 20                                 // 00000000BB58: D2890052 00012903
	s_and_b32 s82, s82, 0xffffff                               // 00000000BB60: 8652FF52 00FFFFFF
	s_cmp_lt_u32 s82, s66                                      // 00000000BB68: BF0A4252
	s_cselect_b32 s20, s36, s60                                // 00000000BB6C: 85143C24
	v_readlane_b32 s82, v3, 21                                 // 00000000BB70: D2890052 00012B03
	s_and_b32 s82, s82, 0xffffff                               // 00000000BB78: 8652FF52 00FFFFFF
	s_cmp_lt_u32 s82, s66                                      // 00000000BB80: BF0A4252
	s_cselect_b32 s21, s36, s60                                // 00000000BB84: 85153C24
	s_mov_b64 exec, s[20:21]                                   // 00000000BB88: BEFE0114
	global_atomic_add_f32 v6, v140, s[8:9]                     // 00000000BB8C: DD348000 00088C06
	s_mov_b64 exec, s[36:37]                                   // 00000000BB94: BEFE0124
	v_mov_b32_e32 v6, v75                                      // 00000000BB98: 7E0C034B
	s_mov_b64 s[60:61], 0                                      // 00000000BB9C: BEBC0180
	v_readlane_b32 s82, v3, 22                                 // 00000000BBA0: D2890052 00012D03
	s_and_b32 s82, s82, 0xffffff                               // 00000000BBA8: 8652FF52 00FFFFFF
	s_cmp_lt_u32 s82, s66                                      // 00000000BBB0: BF0A4252
	s_cselect_b32 s20, s36, s60                                // 00000000BBB4: 85143C24
	v_readlane_b32 s82, v3, 23                                 // 00000000BBB8: D2890052 00012F03
	s_and_b32 s82, s82, 0xffffff                               // 00000000BBC0: 8652FF52 00FFFFFF
	s_cmp_lt_u32 s82, s66                                      // 00000000BBC8: BF0A4252
	s_cselect_b32 s21, s36, s60                                // 00000000BBCC: 85153C24
	s_mov_b64 exec, s[20:21]                                   // 00000000BBD0: BEFE0114
	global_atomic_add_f32 v6, v141, s[8:9]                     // 00000000BBD4: DD348000 00088D06
	s_mov_b64 exec, s[36:37]                                   // 00000000BBDC: BEFE0124
	v_mov_b32_e32 v6, v76                                      // 00000000BBE0: 7E0C034C
	s_mov_b64 s[60:61], 0                                      // 00000000BBE4: BEBC0180
	v_readlane_b32 s82, v3, 24                                 // 00000000BBE8: D2890052 00013103
	s_and_b32 s82, s82, 0xffffff                               // 00000000BBF0: 8652FF52 00FFFFFF
	s_cmp_lt_u32 s82, s66                                      // 00000000BBF8: BF0A4252
	s_cselect_b32 s20, s36, s60                                // 00000000BBFC: 85143C24
	v_readlane_b32 s82, v3, 25                                 // 00000000BC00: D2890052 00013303
	s_and_b32 s82, s82, 0xffffff                               // 00000000BC08: 8652FF52 00FFFFFF
	s_cmp_lt_u32 s82, s66                                      // 00000000BC10: BF0A4252
	s_cselect_b32 s21, s36, s60                                // 00000000BC14: 85153C24
	s_mov_b64 exec, s[20:21]                                   // 00000000BC18: BEFE0114
	global_atomic_add_f32 v6, v144, s[8:9]                     // 00000000BC1C: DD348000 00089006
	s_mov_b64 exec, s[36:37]                                   // 00000000BC24: BEFE0124
	v_mov_b32_e32 v6, v77                                      // 00000000BC28: 7E0C034D
	s_mov_b64 s[60:61], 0                                      // 00000000BC2C: BEBC0180
	v_readlane_b32 s82, v3, 26                                 // 00000000BC30: D2890052 00013503
	s_and_b32 s82, s82, 0xffffff                               // 00000000BC38: 8652FF52 00FFFFFF
	s_cmp_lt_u32 s82, s66                                      // 00000000BC40: BF0A4252
	s_cselect_b32 s20, s36, s60                                // 00000000BC44: 85143C24
	v_readlane_b32 s82, v3, 27                                 // 00000000BC48: D2890052 00013703
	s_and_b32 s82, s82, 0xffffff                               // 00000000BC50: 8652FF52 00FFFFFF
	s_cmp_lt_u32 s82, s66                                      // 00000000BC58: BF0A4252
	s_cselect_b32 s21, s36, s60                                // 00000000BC5C: 85153C24
	s_mov_b64 exec, s[20:21]                                   // 00000000BC60: BEFE0114
	global_atomic_add_f32 v6, v145, s[8:9]                     // 00000000BC64: DD348000 00089106
	s_mov_b64 exec, s[36:37]                                   // 00000000BC6C: BEFE0124
	v_mov_b32_e32 v6, v78                                      // 00000000BC70: 7E0C034E
	s_mov_b64 s[60:61], 0                                      // 00000000BC74: BEBC0180
	v_readlane_b32 s82, v3, 28                                 // 00000000BC78: D2890052 00013903
	s_and_b32 s82, s82, 0xffffff                               // 00000000BC80: 8652FF52 00FFFFFF
	s_cmp_lt_u32 s82, s66                                      // 00000000BC88: BF0A4252
	s_cselect_b32 s20, s36, s60                                // 00000000BC8C: 85143C24
	v_readlane_b32 s82, v3, 29                                 // 00000000BC90: D2890052 00013B03
	s_and_b32 s82, s82, 0xffffff                               // 00000000BC98: 8652FF52 00FFFFFF
	s_cmp_lt_u32 s82, s66                                      // 00000000BCA0: BF0A4252
	s_cselect_b32 s21, s36, s60                                // 00000000BCA4: 85153C24
	s_mov_b64 exec, s[20:21]                                   // 00000000BCA8: BEFE0114
	global_atomic_add_f32 v6, v148, s[8:9]                     // 00000000BCAC: DD348000 00089406
	s_mov_b64 exec, s[36:37]                                   // 00000000BCB4: BEFE0124
	v_mov_b32_e32 v6, v79                                      // 00000000BCB8: 7E0C034F
	s_mov_b64 s[60:61], 0                                      // 00000000BCBC: BEBC0180
	v_readlane_b32 s82, v3, 30                                 // 00000000BCC0: D2890052 00013D03
	s_and_b32 s82, s82, 0xffffff                               // 00000000BCC8: 8652FF52 00FFFFFF
	s_cmp_lt_u32 s82, s66                                      // 00000000BCD0: BF0A4252
	s_cselect_b32 s20, s36, s60                                // 00000000BCD4: 85143C24
	v_readlane_b32 s82, v3, 31                                 // 00000000BCD8: D2890052 00013F03
	s_and_b32 s82, s82, 0xffffff                               // 00000000BCE0: 8652FF52 00FFFFFF
	s_cmp_lt_u32 s82, s66                                      // 00000000BCE8: BF0A4252
	s_cselect_b32 s21, s36, s60                                // 00000000BCEC: 85153C24
	s_mov_b64 exec, s[20:21]                                   // 00000000BCF0: BEFE0114
	global_atomic_add_f32 v6, v149, s[8:9]                     // 00000000BCF4: DD348000 00089506
	s_mov_b64 exec, s[36:37]                                   // 00000000BCFC: BEFE0124
	v_mov_b32_e32 v6, v80                                      // 00000000BD00: 7E0C0350
	s_mov_b64 s[60:61], 0                                      // 00000000BD04: BEBC0180
	v_readlane_b32 s82, v3, 32                                 // 00000000BD08: D2890052 00014103
	s_and_b32 s82, s82, 0xffffff                               // 00000000BD10: 8652FF52 00FFFFFF
	s_cmp_lt_u32 s82, s66                                      // 00000000BD18: BF0A4252
	s_cselect_b32 s20, s36, s60                                // 00000000BD1C: 85143C24
	v_readlane_b32 s82, v3, 33                                 // 00000000BD20: D2890052 00014303
	s_and_b32 s82, s82, 0xffffff                               // 00000000BD28: 8652FF52 00FFFFFF
	s_cmp_lt_u32 s82, s66                                      // 00000000BD30: BF0A4252
	s_cselect_b32 s21, s36, s60                                // 00000000BD34: 85153C24
	s_mov_b64 exec, s[20:21]                                   // 00000000BD38: BEFE0114
	global_atomic_add_f32 v6, v152, s[8:9]                     // 00000000BD3C: DD348000 00089806
	s_mov_b64 exec, s[36:37]                                   // 00000000BD44: BEFE0124
	v_mov_b32_e32 v6, v81                                      // 00000000BD48: 7E0C0351
	s_mov_b64 s[60:61], 0                                      // 00000000BD4C: BEBC0180
	v_readlane_b32 s82, v3, 34                                 // 00000000BD50: D2890052 00014503
	s_and_b32 s82, s82, 0xffffff                               // 00000000BD58: 8652FF52 00FFFFFF
	s_cmp_lt_u32 s82, s66                                      // 00000000BD60: BF0A4252
	s_cselect_b32 s20, s36, s60                                // 00000000BD64: 85143C24
	v_readlane_b32 s82, v3, 35                                 // 00000000BD68: D2890052 00014703
	s_and_b32 s82, s82, 0xffffff                               // 00000000BD70: 8652FF52 00FFFFFF
	s_cmp_lt_u32 s82, s66                                      // 00000000BD78: BF0A4252
	s_cselect_b32 s21, s36, s60                                // 00000000BD7C: 85153C24
	s_mov_b64 exec, s[20:21]                                   // 00000000BD80: BEFE0114
	global_atomic_add_f32 v6, v153, s[8:9]                     // 00000000BD84: DD348000 00089906
	s_mov_b64 exec, s[36:37]                                   // 00000000BD8C: BEFE0124
	ds_write_b64 v20, v[122:123]                               // 00000000BD90: D89A0000 00007A14
	ds_write_b64 v20, v[126:127] offset:2176                   // 00000000BD98: D89A0880 00007E14
	ds_write_b64 v20, v[130:131] offset:4352                   // 00000000BDA0: D89A1100 00008214
	ds_write_b64 v20, v[134:135] offset:6528                   // 00000000BDA8: D89A1980 00008614
	ds_write_b64 v20, v[138:139] offset:8704                   // 00000000BDB0: D89A2200 00008A14
	ds_write_b64 v20, v[142:143] offset:10880                  // 00000000BDB8: D89A2A80 00008E14
	ds_write_b64 v20, v[146:147] offset:13056                  // 00000000BDC0: D89A3300 00009214
	ds_write_b64 v20, v[150:151] offset:15232                  // 00000000BDC8: D89A3B80 00009614
	ds_write_b64 v20, v[154:155] offset:17408                  // 00000000BDD0: D89A4400 00009A14
	s_waitcnt lgkmcnt(0)                                       // 00000000BDD8: BF8CC07F
	s_barrier                                                  // 00000000BDDC: BF8A0000
	ds_read_b32 v122, v21                                      // 00000000BDE0: D86C0000 7A000015
	ds_read_b32 v123, v21 offset:64                            // 00000000BDE8: D86C0040 7B000015
	ds_read_b32 v126, v21 offset:2176                          // 00000000BDF0: D86C0880 7E000015
	ds_read_b32 v127, v21 offset:2240                          // 00000000BDF8: D86C08C0 7F000015
	ds_read_b32 v130, v21 offset:4352                          // 00000000BE00: D86C1100 82000015
	ds_read_b32 v131, v21 offset:4416                          // 00000000BE08: D86C1140 83000015
	ds_read_b32 v134, v21 offset:6528                          // 00000000BE10: D86C1980 86000015
	ds_read_b32 v135, v21 offset:6592                          // 00000000BE18: D86C19C0 87000015
	ds_read_b32 v138, v21 offset:8704                          // 00000000BE20: D86C2200 8A000015
	ds_read_b32 v139, v21 offset:8768                          // 00000000BE28: D86C2240 8B000015
	ds_read_b32 v142, v21 offset:10880                         // 00000000BE30: D86C2A80 8E000015
	ds_read_b32 v143, v21 offset:10944                         // 00000000BE38: D86C2AC0 8F000015
	ds_read_b32 v146, v21 offset:13056                         // 00000000BE40: D86C3300 92000015
	ds_read_b32 v147, v21 offset:13120                         // 00000000BE48: D86C3340 93000015
	ds_read_b32 v150, v21 offset:15232                         // 00000000BE50: D86C3B80 96000015
	ds_read_b32 v151, v21 offset:15296                         // 00000000BE58: D86C3BC0 97000015
	ds_read_b32 v154, v21 offset:17408                         // 00000000BE60: D86C4400 9A000015
	ds_read_b32 v155, v21 offset:17472                         // 00000000BE68: D86C4440 9B000015
	s_waitcnt lgkmcnt(0)                                       // 00000000BE70: BF8CC07F
	v_mov_b32_e32 v7, 0                                        // 00000000BE74: 7E0E0280
	s_mov_b64 exec, s[36:37]                                   // 00000000BE78: BEFE0124
	v_mov_b32_e32 v6, v64                                      // 00000000BE7C: 7E0C0340
	s_mov_b64 s[60:61], 0                                      // 00000000BE80: BEBC0180
	v_readlane_b32 s82, v3, 0                                  // 00000000BE84: D2890052 00010103
	s_and_b32 s82, s82, 0xffffff                               // 00000000BE8C: 8652FF52 00FFFFFF
	s_cmp_lt_u32 s82, s66                                      // 00000000BE94: BF0A4252
	s_cselect_b32 s20, s36, s60                                // 00000000BE98: 85143C24
	v_readlane_b32 s82, v3, 1                                  // 00000000BE9C: D2890052 00010303
	s_and_b32 s82, s82, 0xffffff                               // 00000000BEA4: 8652FF52 00FFFFFF
	s_cmp_lt_u32 s82, s66                                      // 00000000BEAC: BF0A4252
	s_cselect_b32 s21, s36, s60                                // 00000000BEB0: 85153C24
	s_mov_b64 exec, s[20:21]                                   // 00000000BEB4: BEFE0114
	global_atomic_add_f32 v6, v122, s[8:9] offset:8            // 00000000BEB8: DD348008 00087A06
	s_mov_b64 exec, s[36:37]                                   // 00000000BEC0: BEFE0124
	v_mov_b32_e32 v6, v65                                      // 00000000BEC4: 7E0C0341
	s_mov_b64 s[60:61], 0                                      // 00000000BEC8: BEBC0180
	v_readlane_b32 s82, v3, 2                                  // 00000000BECC: D2890052 00010503
	s_and_b32 s82, s82, 0xffffff                               // 00000000BED4: 8652FF52 00FFFFFF
	s_cmp_lt_u32 s82, s66                                      // 00000000BEDC: BF0A4252
	s_cselect_b32 s20, s36, s60                                // 00000000BEE0: 85143C24
	v_readlane_b32 s82, v3, 3                                  // 00000000BEE4: D2890052 00010703
	s_and_b32 s82, s82, 0xffffff                               // 00000000BEEC: 8652FF52 00FFFFFF
	s_cmp_lt_u32 s82, s66                                      // 00000000BEF4: BF0A4252
	s_cselect_b32 s21, s36, s60                                // 00000000BEF8: 85153C24
	s_mov_b64 exec, s[20:21]                                   // 00000000BEFC: BEFE0114
	global_atomic_add_f32 v6, v123, s[8:9] offset:8            // 00000000BF00: DD348008 00087B06
	s_mov_b64 exec, s[36:37]                                   // 00000000BF08: BEFE0124
	v_mov_b32_e32 v6, v66                                      // 00000000BF0C: 7E0C0342
	s_mov_b64 s[60:61], 0                                      // 00000000BF10: BEBC0180
	v_readlane_b32 s82, v3, 4                                  // 00000000BF14: D2890052 00010903
	s_and_b32 s82, s82, 0xffffff                               // 00000000BF1C: 8652FF52 00FFFFFF
	s_cmp_lt_u32 s82, s66                                      // 00000000BF24: BF0A4252
	s_cselect_b32 s20, s36, s60                                // 00000000BF28: 85143C24
	v_readlane_b32 s82, v3, 5                                  // 00000000BF2C: D2890052 00010B03
	s_and_b32 s82, s82, 0xffffff                               // 00000000BF34: 8652FF52 00FFFFFF
	s_cmp_lt_u32 s82, s66                                      // 00000000BF3C: BF0A4252
	s_cselect_b32 s21, s36, s60                                // 00000000BF40: 85153C24
	s_mov_b64 exec, s[20:21]                                   // 00000000BF44: BEFE0114
	global_atomic_add_f32 v6, v126, s[8:9] offset:8            // 00000000BF48: DD348008 00087E06
	s_mov_b64 exec, s[36:37]                                   // 00000000BF50: BEFE0124
	v_mov_b32_e32 v6, v67                                      // 00000000BF54: 7E0C0343
	s_mov_b64 s[60:61], 0                                      // 00000000BF58: BEBC0180
	v_readlane_b32 s82, v3, 6                                  // 00000000BF5C: D2890052 00010D03
	s_and_b32 s82, s82, 0xffffff                               // 00000000BF64: 8652FF52 00FFFFFF
	s_cmp_lt_u32 s82, s66                                      // 00000000BF6C: BF0A4252
	s_cselect_b32 s20, s36, s60                                // 00000000BF70: 85143C24
	v_readlane_b32 s82, v3, 7                                  // 00000000BF74: D2890052 00010F03
	s_and_b32 s82, s82, 0xffffff                               // 00000000BF7C: 8652FF52 00FFFFFF
	s_cmp_lt_u32 s82, s66                                      // 00000000BF84: BF0A4252
	s_cselect_b32 s21, s36, s60                                // 00000000BF88: 85153C24
	s_mov_b64 exec, s[20:21]                                   // 00000000BF8C: BEFE0114
	global_atomic_add_f32 v6, v127, s[8:9] offset:8            // 00000000BF90: DD348008 00087F06
	s_mov_b64 exec, s[36:37]                                   // 00000000BF98: BEFE0124
	v_mov_b32_e32 v6, v68                                      // 00000000BF9C: 7E0C0344
	s_mov_b64 s[60:61], 0                                      // 00000000BFA0: BEBC0180
	v_readlane_b32 s82, v3, 8                                  // 00000000BFA4: D2890052 00011103
	s_and_b32 s82, s82, 0xffffff                               // 00000000BFAC: 8652FF52 00FFFFFF
	s_cmp_lt_u32 s82, s66                                      // 00000000BFB4: BF0A4252
	s_cselect_b32 s20, s36, s60                                // 00000000BFB8: 85143C24
	v_readlane_b32 s82, v3, 9                                  // 00000000BFBC: D2890052 00011303
	s_and_b32 s82, s82, 0xffffff                               // 00000000BFC4: 8652FF52 00FFFFFF
	s_cmp_lt_u32 s82, s66                                      // 00000000BFCC: BF0A4252
	s_cselect_b32 s21, s36, s60                                // 00000000BFD0: 85153C24
	s_mov_b64 exec, s[20:21]                                   // 00000000BFD4: BEFE0114
	global_atomic_add_f32 v6, v130, s[8:9] offset:8            // 00000000BFD8: DD348008 00088206
	s_mov_b64 exec, s[36:37]                                   // 00000000BFE0: BEFE0124
	v_mov_b32_e32 v6, v69                                      // 00000000BFE4: 7E0C0345
	s_mov_b64 s[60:61], 0                                      // 00000000BFE8: BEBC0180
	v_readlane_b32 s82, v3, 10                                 // 00000000BFEC: D2890052 00011503
	s_and_b32 s82, s82, 0xffffff                               // 00000000BFF4: 8652FF52 00FFFFFF
	s_cmp_lt_u32 s82, s66                                      // 00000000BFFC: BF0A4252
	s_cselect_b32 s20, s36, s60                                // 00000000C000: 85143C24
	v_readlane_b32 s82, v3, 11                                 // 00000000C004: D2890052 00011703
	s_and_b32 s82, s82, 0xffffff                               // 00000000C00C: 8652FF52 00FFFFFF
	s_cmp_lt_u32 s82, s66                                      // 00000000C014: BF0A4252
	s_cselect_b32 s21, s36, s60                                // 00000000C018: 85153C24
	s_mov_b64 exec, s[20:21]                                   // 00000000C01C: BEFE0114
	global_atomic_add_f32 v6, v131, s[8:9] offset:8            // 00000000C020: DD348008 00088306
	s_mov_b64 exec, s[36:37]                                   // 00000000C028: BEFE0124
	v_mov_b32_e32 v6, v70                                      // 00000000C02C: 7E0C0346
	s_mov_b64 s[60:61], 0                                      // 00000000C030: BEBC0180
	v_readlane_b32 s82, v3, 12                                 // 00000000C034: D2890052 00011903
	s_and_b32 s82, s82, 0xffffff                               // 00000000C03C: 8652FF52 00FFFFFF
	s_cmp_lt_u32 s82, s66                                      // 00000000C044: BF0A4252
	s_cselect_b32 s20, s36, s60                                // 00000000C048: 85143C24
	v_readlane_b32 s82, v3, 13                                 // 00000000C04C: D2890052 00011B03
	s_and_b32 s82, s82, 0xffffff                               // 00000000C054: 8652FF52 00FFFFFF
	s_cmp_lt_u32 s82, s66                                      // 00000000C05C: BF0A4252
	s_cselect_b32 s21, s36, s60                                // 00000000C060: 85153C24
	s_mov_b64 exec, s[20:21]                                   // 00000000C064: BEFE0114
	global_atomic_add_f32 v6, v134, s[8:9] offset:8            // 00000000C068: DD348008 00088606
	s_mov_b64 exec, s[36:37]                                   // 00000000C070: BEFE0124
	v_mov_b32_e32 v6, v71                                      // 00000000C074: 7E0C0347
	s_mov_b64 s[60:61], 0                                      // 00000000C078: BEBC0180
	v_readlane_b32 s82, v3, 14                                 // 00000000C07C: D2890052 00011D03
	s_and_b32 s82, s82, 0xffffff                               // 00000000C084: 8652FF52 00FFFFFF
	s_cmp_lt_u32 s82, s66                                      // 00000000C08C: BF0A4252
	s_cselect_b32 s20, s36, s60                                // 00000000C090: 85143C24
	v_readlane_b32 s82, v3, 15                                 // 00000000C094: D2890052 00011F03
	s_and_b32 s82, s82, 0xffffff                               // 00000000C09C: 8652FF52 00FFFFFF
	s_cmp_lt_u32 s82, s66                                      // 00000000C0A4: BF0A4252
	s_cselect_b32 s21, s36, s60                                // 00000000C0A8: 85153C24
	s_mov_b64 exec, s[20:21]                                   // 00000000C0AC: BEFE0114
	global_atomic_add_f32 v6, v135, s[8:9] offset:8            // 00000000C0B0: DD348008 00088706
	s_mov_b64 exec, s[36:37]                                   // 00000000C0B8: BEFE0124
	v_mov_b32_e32 v6, v72                                      // 00000000C0BC: 7E0C0348
	s_mov_b64 s[60:61], 0                                      // 00000000C0C0: BEBC0180
	v_readlane_b32 s82, v3, 16                                 // 00000000C0C4: D2890052 00012103
	s_and_b32 s82, s82, 0xffffff                               // 00000000C0CC: 8652FF52 00FFFFFF
	s_cmp_lt_u32 s82, s66                                      // 00000000C0D4: BF0A4252
	s_cselect_b32 s20, s36, s60                                // 00000000C0D8: 85143C24
	v_readlane_b32 s82, v3, 17                                 // 00000000C0DC: D2890052 00012303
	s_and_b32 s82, s82, 0xffffff                               // 00000000C0E4: 8652FF52 00FFFFFF
	s_cmp_lt_u32 s82, s66                                      // 00000000C0EC: BF0A4252
	s_cselect_b32 s21, s36, s60                                // 00000000C0F0: 85153C24
	s_mov_b64 exec, s[20:21]                                   // 00000000C0F4: BEFE0114
	global_atomic_add_f32 v6, v138, s[8:9] offset:8            // 00000000C0F8: DD348008 00088A06
	s_mov_b64 exec, s[36:37]                                   // 00000000C100: BEFE0124
	v_mov_b32_e32 v6, v73                                      // 00000000C104: 7E0C0349
	s_mov_b64 s[60:61], 0                                      // 00000000C108: BEBC0180
	v_readlane_b32 s82, v3, 18                                 // 00000000C10C: D2890052 00012503
	s_and_b32 s82, s82, 0xffffff                               // 00000000C114: 8652FF52 00FFFFFF
	s_cmp_lt_u32 s82, s66                                      // 00000000C11C: BF0A4252
	s_cselect_b32 s20, s36, s60                                // 00000000C120: 85143C24
	v_readlane_b32 s82, v3, 19                                 // 00000000C124: D2890052 00012703
	s_and_b32 s82, s82, 0xffffff                               // 00000000C12C: 8652FF52 00FFFFFF
	s_cmp_lt_u32 s82, s66                                      // 00000000C134: BF0A4252
	s_cselect_b32 s21, s36, s60                                // 00000000C138: 85153C24
	s_mov_b64 exec, s[20:21]                                   // 00000000C13C: BEFE0114
	global_atomic_add_f32 v6, v139, s[8:9] offset:8            // 00000000C140: DD348008 00088B06
	s_mov_b64 exec, s[36:37]                                   // 00000000C148: BEFE0124
	v_mov_b32_e32 v6, v74                                      // 00000000C14C: 7E0C034A
	s_mov_b64 s[60:61], 0                                      // 00000000C150: BEBC0180
	v_readlane_b32 s82, v3, 20                                 // 00000000C154: D2890052 00012903
	s_and_b32 s82, s82, 0xffffff                               // 00000000C15C: 8652FF52 00FFFFFF
	s_cmp_lt_u32 s82, s66                                      // 00000000C164: BF0A4252
	s_cselect_b32 s20, s36, s60                                // 00000000C168: 85143C24
	v_readlane_b32 s82, v3, 21                                 // 00000000C16C: D2890052 00012B03
	s_and_b32 s82, s82, 0xffffff                               // 00000000C174: 8652FF52 00FFFFFF
	s_cmp_lt_u32 s82, s66                                      // 00000000C17C: BF0A4252
	s_cselect_b32 s21, s36, s60                                // 00000000C180: 85153C24
	s_mov_b64 exec, s[20:21]                                   // 00000000C184: BEFE0114
	global_atomic_add_f32 v6, v142, s[8:9] offset:8            // 00000000C188: DD348008 00088E06
	s_mov_b64 exec, s[36:37]                                   // 00000000C190: BEFE0124
	v_mov_b32_e32 v6, v75                                      // 00000000C194: 7E0C034B
	s_mov_b64 s[60:61], 0                                      // 00000000C198: BEBC0180
	v_readlane_b32 s82, v3, 22                                 // 00000000C19C: D2890052 00012D03
	s_and_b32 s82, s82, 0xffffff                               // 00000000C1A4: 8652FF52 00FFFFFF
	s_cmp_lt_u32 s82, s66                                      // 00000000C1AC: BF0A4252
	s_cselect_b32 s20, s36, s60                                // 00000000C1B0: 85143C24
	v_readlane_b32 s82, v3, 23                                 // 00000000C1B4: D2890052 00012F03
	s_and_b32 s82, s82, 0xffffff                               // 00000000C1BC: 8652FF52 00FFFFFF
	s_cmp_lt_u32 s82, s66                                      // 00000000C1C4: BF0A4252
	s_cselect_b32 s21, s36, s60                                // 00000000C1C8: 85153C24
	s_mov_b64 exec, s[20:21]                                   // 00000000C1CC: BEFE0114
	global_atomic_add_f32 v6, v143, s[8:9] offset:8            // 00000000C1D0: DD348008 00088F06
	s_mov_b64 exec, s[36:37]                                   // 00000000C1D8: BEFE0124
	v_mov_b32_e32 v6, v76                                      // 00000000C1DC: 7E0C034C
	s_mov_b64 s[60:61], 0                                      // 00000000C1E0: BEBC0180
	v_readlane_b32 s82, v3, 24                                 // 00000000C1E4: D2890052 00013103
	s_and_b32 s82, s82, 0xffffff                               // 00000000C1EC: 8652FF52 00FFFFFF
	s_cmp_lt_u32 s82, s66                                      // 00000000C1F4: BF0A4252
	s_cselect_b32 s20, s36, s60                                // 00000000C1F8: 85143C24
	v_readlane_b32 s82, v3, 25                                 // 00000000C1FC: D2890052 00013303
	s_and_b32 s82, s82, 0xffffff                               // 00000000C204: 8652FF52 00FFFFFF
	s_cmp_lt_u32 s82, s66                                      // 00000000C20C: BF0A4252
	s_cselect_b32 s21, s36, s60                                // 00000000C210: 85153C24
	s_mov_b64 exec, s[20:21]                                   // 00000000C214: BEFE0114
	global_atomic_add_f32 v6, v146, s[8:9] offset:8            // 00000000C218: DD348008 00089206
	s_mov_b64 exec, s[36:37]                                   // 00000000C220: BEFE0124
	v_mov_b32_e32 v6, v77                                      // 00000000C224: 7E0C034D
	s_mov_b64 s[60:61], 0                                      // 00000000C228: BEBC0180
	v_readlane_b32 s82, v3, 26                                 // 00000000C22C: D2890052 00013503
	s_and_b32 s82, s82, 0xffffff                               // 00000000C234: 8652FF52 00FFFFFF
	s_cmp_lt_u32 s82, s66                                      // 00000000C23C: BF0A4252
	s_cselect_b32 s20, s36, s60                                // 00000000C240: 85143C24
	v_readlane_b32 s82, v3, 27                                 // 00000000C244: D2890052 00013703
	s_and_b32 s82, s82, 0xffffff                               // 00000000C24C: 8652FF52 00FFFFFF
	s_cmp_lt_u32 s82, s66                                      // 00000000C254: BF0A4252
	s_cselect_b32 s21, s36, s60                                // 00000000C258: 85153C24
	s_mov_b64 exec, s[20:21]                                   // 00000000C25C: BEFE0114
	global_atomic_add_f32 v6, v147, s[8:9] offset:8            // 00000000C260: DD348008 00089306
	s_mov_b64 exec, s[36:37]                                   // 00000000C268: BEFE0124
	v_mov_b32_e32 v6, v78                                      // 00000000C26C: 7E0C034E
	s_mov_b64 s[60:61], 0                                      // 00000000C270: BEBC0180
	v_readlane_b32 s82, v3, 28                                 // 00000000C274: D2890052 00013903
	s_and_b32 s82, s82, 0xffffff                               // 00000000C27C: 8652FF52 00FFFFFF
	s_cmp_lt_u32 s82, s66                                      // 00000000C284: BF0A4252
	s_cselect_b32 s20, s36, s60                                // 00000000C288: 85143C24
	v_readlane_b32 s82, v3, 29                                 // 00000000C28C: D2890052 00013B03
	s_and_b32 s82, s82, 0xffffff                               // 00000000C294: 8652FF52 00FFFFFF
	s_cmp_lt_u32 s82, s66                                      // 00000000C29C: BF0A4252
	s_cselect_b32 s21, s36, s60                                // 00000000C2A0: 85153C24
	s_mov_b64 exec, s[20:21]                                   // 00000000C2A4: BEFE0114
	global_atomic_add_f32 v6, v150, s[8:9] offset:8            // 00000000C2A8: DD348008 00089606
	s_mov_b64 exec, s[36:37]                                   // 00000000C2B0: BEFE0124
	v_mov_b32_e32 v6, v79                                      // 00000000C2B4: 7E0C034F
	s_mov_b64 s[60:61], 0                                      // 00000000C2B8: BEBC0180
	v_readlane_b32 s82, v3, 30                                 // 00000000C2BC: D2890052 00013D03
	s_and_b32 s82, s82, 0xffffff                               // 00000000C2C4: 8652FF52 00FFFFFF
	s_cmp_lt_u32 s82, s66                                      // 00000000C2CC: BF0A4252
	s_cselect_b32 s20, s36, s60                                // 00000000C2D0: 85143C24
	v_readlane_b32 s82, v3, 31                                 // 00000000C2D4: D2890052 00013F03
	s_and_b32 s82, s82, 0xffffff                               // 00000000C2DC: 8652FF52 00FFFFFF
	s_cmp_lt_u32 s82, s66                                      // 00000000C2E4: BF0A4252
	s_cselect_b32 s21, s36, s60                                // 00000000C2E8: 85153C24
	s_mov_b64 exec, s[20:21]                                   // 00000000C2EC: BEFE0114
	global_atomic_add_f32 v6, v151, s[8:9] offset:8            // 00000000C2F0: DD348008 00089706
	s_mov_b64 exec, s[36:37]                                   // 00000000C2F8: BEFE0124
	v_mov_b32_e32 v6, v80                                      // 00000000C2FC: 7E0C0350
	s_mov_b64 s[60:61], 0                                      // 00000000C300: BEBC0180
	v_readlane_b32 s82, v3, 32                                 // 00000000C304: D2890052 00014103
	s_and_b32 s82, s82, 0xffffff                               // 00000000C30C: 8652FF52 00FFFFFF
	s_cmp_lt_u32 s82, s66                                      // 00000000C314: BF0A4252
	s_cselect_b32 s20, s36, s60                                // 00000000C318: 85143C24
	v_readlane_b32 s82, v3, 33                                 // 00000000C31C: D2890052 00014303
	s_and_b32 s82, s82, 0xffffff                               // 00000000C324: 8652FF52 00FFFFFF
	s_cmp_lt_u32 s82, s66                                      // 00000000C32C: BF0A4252
	s_cselect_b32 s21, s36, s60                                // 00000000C330: 85153C24
	s_mov_b64 exec, s[20:21]                                   // 00000000C334: BEFE0114
	global_atomic_add_f32 v6, v154, s[8:9] offset:8            // 00000000C338: DD348008 00089A06
	s_mov_b64 exec, s[36:37]                                   // 00000000C340: BEFE0124
	v_mov_b32_e32 v6, v81                                      // 00000000C344: 7E0C0351
	s_mov_b64 s[60:61], 0                                      // 00000000C348: BEBC0180
	v_readlane_b32 s82, v3, 34                                 // 00000000C34C: D2890052 00014503
	s_and_b32 s82, s82, 0xffffff                               // 00000000C354: 8652FF52 00FFFFFF
	s_cmp_lt_u32 s82, s66                                      // 00000000C35C: BF0A4252
	s_cselect_b32 s20, s36, s60                                // 00000000C360: 85143C24
	v_readlane_b32 s82, v3, 35                                 // 00000000C364: D2890052 00014703
	s_and_b32 s82, s82, 0xffffff                               // 00000000C36C: 8652FF52 00FFFFFF
	s_cmp_lt_u32 s82, s66                                      // 00000000C374: BF0A4252
	s_cselect_b32 s21, s36, s60                                // 00000000C378: 85153C24
	s_mov_b64 exec, s[20:21]                                   // 00000000C37C: BEFE0114
	global_atomic_add_f32 v6, v155, s[8:9] offset:8            // 00000000C380: DD348008 00089B06
	s_mov_b64 exec, s[36:37]                                   // 00000000C388: BEFE0124
	s_branch label_2667                                        // 00000000C38C: BF820000

000000000000c390 <label_2667>:
	s_waitcnt vmcnt(0) expcnt(0) lgkmcnt(0)                    // 00000000C390: BF8C0000
	s_endpgm                                                   // 00000000C394: BF810000
